;; amdgpu-corpus repo=ROCm/composable_kernel kind=compiled arch=gfx1201 opt=O3
	.amdgcn_target "amdgcn-amd-amdhsa--gfx1201"
	.amdhsa_code_object_version 6
	.section	.text._ZN2ckL12flush_icacheEv,"axG",@progbits,_ZN2ckL12flush_icacheEv,comdat
	.globl	_ZN2ckL12flush_icacheEv         ; -- Begin function _ZN2ckL12flush_icacheEv
	.p2align	8
	.type	_ZN2ckL12flush_icacheEv,@function
_ZN2ckL12flush_icacheEv:                ; @_ZN2ckL12flush_icacheEv
; %bb.0:
	;;#ASMSTART
	s_icache_inv 
	s_nop 0 
	s_nop 0 
	;; [unrolled: 1-line block ×16, first 2 shown]
	
	;;#ASMEND
	s_endpgm
	.section	.rodata,"a",@progbits
	.p2align	6, 0x0
	.amdhsa_kernel _ZN2ckL12flush_icacheEv
		.amdhsa_group_segment_fixed_size 0
		.amdhsa_private_segment_fixed_size 0
		.amdhsa_kernarg_size 0
		.amdhsa_user_sgpr_count 0
		.amdhsa_user_sgpr_dispatch_ptr 0
		.amdhsa_user_sgpr_queue_ptr 0
		.amdhsa_user_sgpr_kernarg_segment_ptr 0
		.amdhsa_user_sgpr_dispatch_id 0
		.amdhsa_user_sgpr_private_segment_size 0
		.amdhsa_wavefront_size32 1
		.amdhsa_uses_dynamic_stack 0
		.amdhsa_enable_private_segment 0
		.amdhsa_system_sgpr_workgroup_id_x 1
		.amdhsa_system_sgpr_workgroup_id_y 0
		.amdhsa_system_sgpr_workgroup_id_z 0
		.amdhsa_system_sgpr_workgroup_info 0
		.amdhsa_system_vgpr_workitem_id 0
		.amdhsa_next_free_vgpr 1
		.amdhsa_next_free_sgpr 1
		.amdhsa_reserve_vcc 0
		.amdhsa_float_round_mode_32 0
		.amdhsa_float_round_mode_16_64 0
		.amdhsa_float_denorm_mode_32 3
		.amdhsa_float_denorm_mode_16_64 3
		.amdhsa_fp16_overflow 0
		.amdhsa_workgroup_processor_mode 1
		.amdhsa_memory_ordered 1
		.amdhsa_forward_progress 1
		.amdhsa_inst_pref_size 1
		.amdhsa_round_robin_scheduling 0
		.amdhsa_exception_fp_ieee_invalid_op 0
		.amdhsa_exception_fp_denorm_src 0
		.amdhsa_exception_fp_ieee_div_zero 0
		.amdhsa_exception_fp_ieee_overflow 0
		.amdhsa_exception_fp_ieee_underflow 0
		.amdhsa_exception_fp_ieee_inexact 0
		.amdhsa_exception_int_div_zero 0
	.end_amdhsa_kernel
	.section	.text._ZN2ckL12flush_icacheEv,"axG",@progbits,_ZN2ckL12flush_icacheEv,comdat
.Lfunc_end0:
	.size	_ZN2ckL12flush_icacheEv, .Lfunc_end0-_ZN2ckL12flush_icacheEv
                                        ; -- End function
	.set _ZN2ckL12flush_icacheEv.num_vgpr, 0
	.set _ZN2ckL12flush_icacheEv.num_agpr, 0
	.set _ZN2ckL12flush_icacheEv.numbered_sgpr, 0
	.set _ZN2ckL12flush_icacheEv.num_named_barrier, 0
	.set _ZN2ckL12flush_icacheEv.private_seg_size, 0
	.set _ZN2ckL12flush_icacheEv.uses_vcc, 0
	.set _ZN2ckL12flush_icacheEv.uses_flat_scratch, 0
	.set _ZN2ckL12flush_icacheEv.has_dyn_sized_stack, 0
	.set _ZN2ckL12flush_icacheEv.has_recursion, 0
	.set _ZN2ckL12flush_icacheEv.has_indirect_call, 0
	.section	.AMDGPU.csdata,"",@progbits
; Kernel info:
; codeLenInByte = 4
; TotalNumSgprs: 0
; NumVgprs: 0
; ScratchSize: 0
; MemoryBound: 0
; FloatMode: 240
; IeeeMode: 1
; LDSByteSize: 0 bytes/workgroup (compile time only)
; SGPRBlocks: 0
; VGPRBlocks: 0
; NumSGPRsForWavesPerEU: 1
; NumVGPRsForWavesPerEU: 1
; Occupancy: 16
; WaveLimiterHint : 0
; COMPUTE_PGM_RSRC2:SCRATCH_EN: 0
; COMPUTE_PGM_RSRC2:USER_SGPR: 0
; COMPUTE_PGM_RSRC2:TRAP_HANDLER: 0
; COMPUTE_PGM_RSRC2:TGID_X_EN: 1
; COMPUTE_PGM_RSRC2:TGID_Y_EN: 0
; COMPUTE_PGM_RSRC2:TGID_Z_EN: 0
; COMPUTE_PGM_RSRC2:TIDIG_COMP_CNT: 0
	.section	.text._ZN2ck27kernel_gemm_xdl_cshuffle_v3INS_28GridwiseGemm_xdl_cshuffle_v3INS_13tensor_layout4gemm8RowMajorENS3_11ColumnMajorES4_DF16bDF16bfDF16bDF16bNS_16tensor_operation12element_wise11PassThroughES8_S8_LNS6_6device18GemmSpecializationE0ELi256ELi128ELi128ELi64ELi8ELi8ELi16ELi16ELi4ELi4ENS_8SequenceIJLi8ELi32ELi1EEEENSB_IJLi1ELi0ELi2EEEESD_Li2ELi8ELi8ELb0ELi0ESC_SD_SD_Li2ELi8ELi8ELb0ELi0ELi1ELi2ENSB_IJLi1ELi32ELi1ELi8EEEELi8ELNS_26BlockGemmPipelineSchedulerE0ELNS_24BlockGemmPipelineVersionE2EDF16bDF16bLb0ELb0ELb0ELi0ELb0EEELb1ELNS_25InMemoryDataOperationEnumE1ELi2ELNS_10TailNumberE10EEEvNT_8ArgumentE,"axG",@progbits,_ZN2ck27kernel_gemm_xdl_cshuffle_v3INS_28GridwiseGemm_xdl_cshuffle_v3INS_13tensor_layout4gemm8RowMajorENS3_11ColumnMajorES4_DF16bDF16bfDF16bDF16bNS_16tensor_operation12element_wise11PassThroughES8_S8_LNS6_6device18GemmSpecializationE0ELi256ELi128ELi128ELi64ELi8ELi8ELi16ELi16ELi4ELi4ENS_8SequenceIJLi8ELi32ELi1EEEENSB_IJLi1ELi0ELi2EEEESD_Li2ELi8ELi8ELb0ELi0ESC_SD_SD_Li2ELi8ELi8ELb0ELi0ELi1ELi2ENSB_IJLi1ELi32ELi1ELi8EEEELi8ELNS_26BlockGemmPipelineSchedulerE0ELNS_24BlockGemmPipelineVersionE2EDF16bDF16bLb0ELb0ELb0ELi0ELb0EEELb1ELNS_25InMemoryDataOperationEnumE1ELi2ELNS_10TailNumberE10EEEvNT_8ArgumentE,comdat
	.protected	_ZN2ck27kernel_gemm_xdl_cshuffle_v3INS_28GridwiseGemm_xdl_cshuffle_v3INS_13tensor_layout4gemm8RowMajorENS3_11ColumnMajorES4_DF16bDF16bfDF16bDF16bNS_16tensor_operation12element_wise11PassThroughES8_S8_LNS6_6device18GemmSpecializationE0ELi256ELi128ELi128ELi64ELi8ELi8ELi16ELi16ELi4ELi4ENS_8SequenceIJLi8ELi32ELi1EEEENSB_IJLi1ELi0ELi2EEEESD_Li2ELi8ELi8ELb0ELi0ESC_SD_SD_Li2ELi8ELi8ELb0ELi0ELi1ELi2ENSB_IJLi1ELi32ELi1ELi8EEEELi8ELNS_26BlockGemmPipelineSchedulerE0ELNS_24BlockGemmPipelineVersionE2EDF16bDF16bLb0ELb0ELb0ELi0ELb0EEELb1ELNS_25InMemoryDataOperationEnumE1ELi2ELNS_10TailNumberE10EEEvNT_8ArgumentE ; -- Begin function _ZN2ck27kernel_gemm_xdl_cshuffle_v3INS_28GridwiseGemm_xdl_cshuffle_v3INS_13tensor_layout4gemm8RowMajorENS3_11ColumnMajorES4_DF16bDF16bfDF16bDF16bNS_16tensor_operation12element_wise11PassThroughES8_S8_LNS6_6device18GemmSpecializationE0ELi256ELi128ELi128ELi64ELi8ELi8ELi16ELi16ELi4ELi4ENS_8SequenceIJLi8ELi32ELi1EEEENSB_IJLi1ELi0ELi2EEEESD_Li2ELi8ELi8ELb0ELi0ESC_SD_SD_Li2ELi8ELi8ELb0ELi0ELi1ELi2ENSB_IJLi1ELi32ELi1ELi8EEEELi8ELNS_26BlockGemmPipelineSchedulerE0ELNS_24BlockGemmPipelineVersionE2EDF16bDF16bLb0ELb0ELb0ELi0ELb0EEELb1ELNS_25InMemoryDataOperationEnumE1ELi2ELNS_10TailNumberE10EEEvNT_8ArgumentE
	.globl	_ZN2ck27kernel_gemm_xdl_cshuffle_v3INS_28GridwiseGemm_xdl_cshuffle_v3INS_13tensor_layout4gemm8RowMajorENS3_11ColumnMajorES4_DF16bDF16bfDF16bDF16bNS_16tensor_operation12element_wise11PassThroughES8_S8_LNS6_6device18GemmSpecializationE0ELi256ELi128ELi128ELi64ELi8ELi8ELi16ELi16ELi4ELi4ENS_8SequenceIJLi8ELi32ELi1EEEENSB_IJLi1ELi0ELi2EEEESD_Li2ELi8ELi8ELb0ELi0ESC_SD_SD_Li2ELi8ELi8ELb0ELi0ELi1ELi2ENSB_IJLi1ELi32ELi1ELi8EEEELi8ELNS_26BlockGemmPipelineSchedulerE0ELNS_24BlockGemmPipelineVersionE2EDF16bDF16bLb0ELb0ELb0ELi0ELb0EEELb1ELNS_25InMemoryDataOperationEnumE1ELi2ELNS_10TailNumberE10EEEvNT_8ArgumentE
	.p2align	8
	.type	_ZN2ck27kernel_gemm_xdl_cshuffle_v3INS_28GridwiseGemm_xdl_cshuffle_v3INS_13tensor_layout4gemm8RowMajorENS3_11ColumnMajorES4_DF16bDF16bfDF16bDF16bNS_16tensor_operation12element_wise11PassThroughES8_S8_LNS6_6device18GemmSpecializationE0ELi256ELi128ELi128ELi64ELi8ELi8ELi16ELi16ELi4ELi4ENS_8SequenceIJLi8ELi32ELi1EEEENSB_IJLi1ELi0ELi2EEEESD_Li2ELi8ELi8ELb0ELi0ESC_SD_SD_Li2ELi8ELi8ELb0ELi0ELi1ELi2ENSB_IJLi1ELi32ELi1ELi8EEEELi8ELNS_26BlockGemmPipelineSchedulerE0ELNS_24BlockGemmPipelineVersionE2EDF16bDF16bLb0ELb0ELb0ELi0ELb0EEELb1ELNS_25InMemoryDataOperationEnumE1ELi2ELNS_10TailNumberE10EEEvNT_8ArgumentE,@function
_ZN2ck27kernel_gemm_xdl_cshuffle_v3INS_28GridwiseGemm_xdl_cshuffle_v3INS_13tensor_layout4gemm8RowMajorENS3_11ColumnMajorES4_DF16bDF16bfDF16bDF16bNS_16tensor_operation12element_wise11PassThroughES8_S8_LNS6_6device18GemmSpecializationE0ELi256ELi128ELi128ELi64ELi8ELi8ELi16ELi16ELi4ELi4ENS_8SequenceIJLi8ELi32ELi1EEEENSB_IJLi1ELi0ELi2EEEESD_Li2ELi8ELi8ELb0ELi0ESC_SD_SD_Li2ELi8ELi8ELb0ELi0ELi1ELi2ENSB_IJLi1ELi32ELi1ELi8EEEELi8ELNS_26BlockGemmPipelineSchedulerE0ELNS_24BlockGemmPipelineVersionE2EDF16bDF16bLb0ELb0ELb0ELi0ELb0EEELb1ELNS_25InMemoryDataOperationEnumE1ELi2ELNS_10TailNumberE10EEEvNT_8ArgumentE: ; @_ZN2ck27kernel_gemm_xdl_cshuffle_v3INS_28GridwiseGemm_xdl_cshuffle_v3INS_13tensor_layout4gemm8RowMajorENS3_11ColumnMajorES4_DF16bDF16bfDF16bDF16bNS_16tensor_operation12element_wise11PassThroughES8_S8_LNS6_6device18GemmSpecializationE0ELi256ELi128ELi128ELi64ELi8ELi8ELi16ELi16ELi4ELi4ENS_8SequenceIJLi8ELi32ELi1EEEENSB_IJLi1ELi0ELi2EEEESD_Li2ELi8ELi8ELb0ELi0ESC_SD_SD_Li2ELi8ELi8ELb0ELi0ELi1ELi2ENSB_IJLi1ELi32ELi1ELi8EEEELi8ELNS_26BlockGemmPipelineSchedulerE0ELNS_24BlockGemmPipelineVersionE2EDF16bDF16bLb0ELb0ELb0ELi0ELb0EEELb1ELNS_25InMemoryDataOperationEnumE1ELi2ELNS_10TailNumberE10EEEvNT_8ArgumentE
; %bb.0:
	s_endpgm
	.section	.rodata,"a",@progbits
	.p2align	6, 0x0
	.amdhsa_kernel _ZN2ck27kernel_gemm_xdl_cshuffle_v3INS_28GridwiseGemm_xdl_cshuffle_v3INS_13tensor_layout4gemm8RowMajorENS3_11ColumnMajorES4_DF16bDF16bfDF16bDF16bNS_16tensor_operation12element_wise11PassThroughES8_S8_LNS6_6device18GemmSpecializationE0ELi256ELi128ELi128ELi64ELi8ELi8ELi16ELi16ELi4ELi4ENS_8SequenceIJLi8ELi32ELi1EEEENSB_IJLi1ELi0ELi2EEEESD_Li2ELi8ELi8ELb0ELi0ESC_SD_SD_Li2ELi8ELi8ELb0ELi0ELi1ELi2ENSB_IJLi1ELi32ELi1ELi8EEEELi8ELNS_26BlockGemmPipelineSchedulerE0ELNS_24BlockGemmPipelineVersionE2EDF16bDF16bLb0ELb0ELb0ELi0ELb0EEELb1ELNS_25InMemoryDataOperationEnumE1ELi2ELNS_10TailNumberE10EEEvNT_8ArgumentE
		.amdhsa_group_segment_fixed_size 0
		.amdhsa_private_segment_fixed_size 0
		.amdhsa_kernarg_size 112
		.amdhsa_user_sgpr_count 2
		.amdhsa_user_sgpr_dispatch_ptr 0
		.amdhsa_user_sgpr_queue_ptr 0
		.amdhsa_user_sgpr_kernarg_segment_ptr 1
		.amdhsa_user_sgpr_dispatch_id 0
		.amdhsa_user_sgpr_private_segment_size 0
		.amdhsa_wavefront_size32 1
		.amdhsa_uses_dynamic_stack 0
		.amdhsa_enable_private_segment 0
		.amdhsa_system_sgpr_workgroup_id_x 1
		.amdhsa_system_sgpr_workgroup_id_y 0
		.amdhsa_system_sgpr_workgroup_id_z 0
		.amdhsa_system_sgpr_workgroup_info 0
		.amdhsa_system_vgpr_workitem_id 0
		.amdhsa_next_free_vgpr 1
		.amdhsa_next_free_sgpr 1
		.amdhsa_reserve_vcc 0
		.amdhsa_float_round_mode_32 0
		.amdhsa_float_round_mode_16_64 0
		.amdhsa_float_denorm_mode_32 3
		.amdhsa_float_denorm_mode_16_64 3
		.amdhsa_fp16_overflow 0
		.amdhsa_workgroup_processor_mode 1
		.amdhsa_memory_ordered 1
		.amdhsa_forward_progress 1
		.amdhsa_inst_pref_size 1
		.amdhsa_round_robin_scheduling 0
		.amdhsa_exception_fp_ieee_invalid_op 0
		.amdhsa_exception_fp_denorm_src 0
		.amdhsa_exception_fp_ieee_div_zero 0
		.amdhsa_exception_fp_ieee_overflow 0
		.amdhsa_exception_fp_ieee_underflow 0
		.amdhsa_exception_fp_ieee_inexact 0
		.amdhsa_exception_int_div_zero 0
	.end_amdhsa_kernel
	.section	.text._ZN2ck27kernel_gemm_xdl_cshuffle_v3INS_28GridwiseGemm_xdl_cshuffle_v3INS_13tensor_layout4gemm8RowMajorENS3_11ColumnMajorES4_DF16bDF16bfDF16bDF16bNS_16tensor_operation12element_wise11PassThroughES8_S8_LNS6_6device18GemmSpecializationE0ELi256ELi128ELi128ELi64ELi8ELi8ELi16ELi16ELi4ELi4ENS_8SequenceIJLi8ELi32ELi1EEEENSB_IJLi1ELi0ELi2EEEESD_Li2ELi8ELi8ELb0ELi0ESC_SD_SD_Li2ELi8ELi8ELb0ELi0ELi1ELi2ENSB_IJLi1ELi32ELi1ELi8EEEELi8ELNS_26BlockGemmPipelineSchedulerE0ELNS_24BlockGemmPipelineVersionE2EDF16bDF16bLb0ELb0ELb0ELi0ELb0EEELb1ELNS_25InMemoryDataOperationEnumE1ELi2ELNS_10TailNumberE10EEEvNT_8ArgumentE,"axG",@progbits,_ZN2ck27kernel_gemm_xdl_cshuffle_v3INS_28GridwiseGemm_xdl_cshuffle_v3INS_13tensor_layout4gemm8RowMajorENS3_11ColumnMajorES4_DF16bDF16bfDF16bDF16bNS_16tensor_operation12element_wise11PassThroughES8_S8_LNS6_6device18GemmSpecializationE0ELi256ELi128ELi128ELi64ELi8ELi8ELi16ELi16ELi4ELi4ENS_8SequenceIJLi8ELi32ELi1EEEENSB_IJLi1ELi0ELi2EEEESD_Li2ELi8ELi8ELb0ELi0ESC_SD_SD_Li2ELi8ELi8ELb0ELi0ELi1ELi2ENSB_IJLi1ELi32ELi1ELi8EEEELi8ELNS_26BlockGemmPipelineSchedulerE0ELNS_24BlockGemmPipelineVersionE2EDF16bDF16bLb0ELb0ELb0ELi0ELb0EEELb1ELNS_25InMemoryDataOperationEnumE1ELi2ELNS_10TailNumberE10EEEvNT_8ArgumentE,comdat
.Lfunc_end1:
	.size	_ZN2ck27kernel_gemm_xdl_cshuffle_v3INS_28GridwiseGemm_xdl_cshuffle_v3INS_13tensor_layout4gemm8RowMajorENS3_11ColumnMajorES4_DF16bDF16bfDF16bDF16bNS_16tensor_operation12element_wise11PassThroughES8_S8_LNS6_6device18GemmSpecializationE0ELi256ELi128ELi128ELi64ELi8ELi8ELi16ELi16ELi4ELi4ENS_8SequenceIJLi8ELi32ELi1EEEENSB_IJLi1ELi0ELi2EEEESD_Li2ELi8ELi8ELb0ELi0ESC_SD_SD_Li2ELi8ELi8ELb0ELi0ELi1ELi2ENSB_IJLi1ELi32ELi1ELi8EEEELi8ELNS_26BlockGemmPipelineSchedulerE0ELNS_24BlockGemmPipelineVersionE2EDF16bDF16bLb0ELb0ELb0ELi0ELb0EEELb1ELNS_25InMemoryDataOperationEnumE1ELi2ELNS_10TailNumberE10EEEvNT_8ArgumentE, .Lfunc_end1-_ZN2ck27kernel_gemm_xdl_cshuffle_v3INS_28GridwiseGemm_xdl_cshuffle_v3INS_13tensor_layout4gemm8RowMajorENS3_11ColumnMajorES4_DF16bDF16bfDF16bDF16bNS_16tensor_operation12element_wise11PassThroughES8_S8_LNS6_6device18GemmSpecializationE0ELi256ELi128ELi128ELi64ELi8ELi8ELi16ELi16ELi4ELi4ENS_8SequenceIJLi8ELi32ELi1EEEENSB_IJLi1ELi0ELi2EEEESD_Li2ELi8ELi8ELb0ELi0ESC_SD_SD_Li2ELi8ELi8ELb0ELi0ELi1ELi2ENSB_IJLi1ELi32ELi1ELi8EEEELi8ELNS_26BlockGemmPipelineSchedulerE0ELNS_24BlockGemmPipelineVersionE2EDF16bDF16bLb0ELb0ELb0ELi0ELb0EEELb1ELNS_25InMemoryDataOperationEnumE1ELi2ELNS_10TailNumberE10EEEvNT_8ArgumentE
                                        ; -- End function
	.set _ZN2ck27kernel_gemm_xdl_cshuffle_v3INS_28GridwiseGemm_xdl_cshuffle_v3INS_13tensor_layout4gemm8RowMajorENS3_11ColumnMajorES4_DF16bDF16bfDF16bDF16bNS_16tensor_operation12element_wise11PassThroughES8_S8_LNS6_6device18GemmSpecializationE0ELi256ELi128ELi128ELi64ELi8ELi8ELi16ELi16ELi4ELi4ENS_8SequenceIJLi8ELi32ELi1EEEENSB_IJLi1ELi0ELi2EEEESD_Li2ELi8ELi8ELb0ELi0ESC_SD_SD_Li2ELi8ELi8ELb0ELi0ELi1ELi2ENSB_IJLi1ELi32ELi1ELi8EEEELi8ELNS_26BlockGemmPipelineSchedulerE0ELNS_24BlockGemmPipelineVersionE2EDF16bDF16bLb0ELb0ELb0ELi0ELb0EEELb1ELNS_25InMemoryDataOperationEnumE1ELi2ELNS_10TailNumberE10EEEvNT_8ArgumentE.num_vgpr, 0
	.set _ZN2ck27kernel_gemm_xdl_cshuffle_v3INS_28GridwiseGemm_xdl_cshuffle_v3INS_13tensor_layout4gemm8RowMajorENS3_11ColumnMajorES4_DF16bDF16bfDF16bDF16bNS_16tensor_operation12element_wise11PassThroughES8_S8_LNS6_6device18GemmSpecializationE0ELi256ELi128ELi128ELi64ELi8ELi8ELi16ELi16ELi4ELi4ENS_8SequenceIJLi8ELi32ELi1EEEENSB_IJLi1ELi0ELi2EEEESD_Li2ELi8ELi8ELb0ELi0ESC_SD_SD_Li2ELi8ELi8ELb0ELi0ELi1ELi2ENSB_IJLi1ELi32ELi1ELi8EEEELi8ELNS_26BlockGemmPipelineSchedulerE0ELNS_24BlockGemmPipelineVersionE2EDF16bDF16bLb0ELb0ELb0ELi0ELb0EEELb1ELNS_25InMemoryDataOperationEnumE1ELi2ELNS_10TailNumberE10EEEvNT_8ArgumentE.num_agpr, 0
	.set _ZN2ck27kernel_gemm_xdl_cshuffle_v3INS_28GridwiseGemm_xdl_cshuffle_v3INS_13tensor_layout4gemm8RowMajorENS3_11ColumnMajorES4_DF16bDF16bfDF16bDF16bNS_16tensor_operation12element_wise11PassThroughES8_S8_LNS6_6device18GemmSpecializationE0ELi256ELi128ELi128ELi64ELi8ELi8ELi16ELi16ELi4ELi4ENS_8SequenceIJLi8ELi32ELi1EEEENSB_IJLi1ELi0ELi2EEEESD_Li2ELi8ELi8ELb0ELi0ESC_SD_SD_Li2ELi8ELi8ELb0ELi0ELi1ELi2ENSB_IJLi1ELi32ELi1ELi8EEEELi8ELNS_26BlockGemmPipelineSchedulerE0ELNS_24BlockGemmPipelineVersionE2EDF16bDF16bLb0ELb0ELb0ELi0ELb0EEELb1ELNS_25InMemoryDataOperationEnumE1ELi2ELNS_10TailNumberE10EEEvNT_8ArgumentE.numbered_sgpr, 0
	.set _ZN2ck27kernel_gemm_xdl_cshuffle_v3INS_28GridwiseGemm_xdl_cshuffle_v3INS_13tensor_layout4gemm8RowMajorENS3_11ColumnMajorES4_DF16bDF16bfDF16bDF16bNS_16tensor_operation12element_wise11PassThroughES8_S8_LNS6_6device18GemmSpecializationE0ELi256ELi128ELi128ELi64ELi8ELi8ELi16ELi16ELi4ELi4ENS_8SequenceIJLi8ELi32ELi1EEEENSB_IJLi1ELi0ELi2EEEESD_Li2ELi8ELi8ELb0ELi0ESC_SD_SD_Li2ELi8ELi8ELb0ELi0ELi1ELi2ENSB_IJLi1ELi32ELi1ELi8EEEELi8ELNS_26BlockGemmPipelineSchedulerE0ELNS_24BlockGemmPipelineVersionE2EDF16bDF16bLb0ELb0ELb0ELi0ELb0EEELb1ELNS_25InMemoryDataOperationEnumE1ELi2ELNS_10TailNumberE10EEEvNT_8ArgumentE.num_named_barrier, 0
	.set _ZN2ck27kernel_gemm_xdl_cshuffle_v3INS_28GridwiseGemm_xdl_cshuffle_v3INS_13tensor_layout4gemm8RowMajorENS3_11ColumnMajorES4_DF16bDF16bfDF16bDF16bNS_16tensor_operation12element_wise11PassThroughES8_S8_LNS6_6device18GemmSpecializationE0ELi256ELi128ELi128ELi64ELi8ELi8ELi16ELi16ELi4ELi4ENS_8SequenceIJLi8ELi32ELi1EEEENSB_IJLi1ELi0ELi2EEEESD_Li2ELi8ELi8ELb0ELi0ESC_SD_SD_Li2ELi8ELi8ELb0ELi0ELi1ELi2ENSB_IJLi1ELi32ELi1ELi8EEEELi8ELNS_26BlockGemmPipelineSchedulerE0ELNS_24BlockGemmPipelineVersionE2EDF16bDF16bLb0ELb0ELb0ELi0ELb0EEELb1ELNS_25InMemoryDataOperationEnumE1ELi2ELNS_10TailNumberE10EEEvNT_8ArgumentE.private_seg_size, 0
	.set _ZN2ck27kernel_gemm_xdl_cshuffle_v3INS_28GridwiseGemm_xdl_cshuffle_v3INS_13tensor_layout4gemm8RowMajorENS3_11ColumnMajorES4_DF16bDF16bfDF16bDF16bNS_16tensor_operation12element_wise11PassThroughES8_S8_LNS6_6device18GemmSpecializationE0ELi256ELi128ELi128ELi64ELi8ELi8ELi16ELi16ELi4ELi4ENS_8SequenceIJLi8ELi32ELi1EEEENSB_IJLi1ELi0ELi2EEEESD_Li2ELi8ELi8ELb0ELi0ESC_SD_SD_Li2ELi8ELi8ELb0ELi0ELi1ELi2ENSB_IJLi1ELi32ELi1ELi8EEEELi8ELNS_26BlockGemmPipelineSchedulerE0ELNS_24BlockGemmPipelineVersionE2EDF16bDF16bLb0ELb0ELb0ELi0ELb0EEELb1ELNS_25InMemoryDataOperationEnumE1ELi2ELNS_10TailNumberE10EEEvNT_8ArgumentE.uses_vcc, 0
	.set _ZN2ck27kernel_gemm_xdl_cshuffle_v3INS_28GridwiseGemm_xdl_cshuffle_v3INS_13tensor_layout4gemm8RowMajorENS3_11ColumnMajorES4_DF16bDF16bfDF16bDF16bNS_16tensor_operation12element_wise11PassThroughES8_S8_LNS6_6device18GemmSpecializationE0ELi256ELi128ELi128ELi64ELi8ELi8ELi16ELi16ELi4ELi4ENS_8SequenceIJLi8ELi32ELi1EEEENSB_IJLi1ELi0ELi2EEEESD_Li2ELi8ELi8ELb0ELi0ESC_SD_SD_Li2ELi8ELi8ELb0ELi0ELi1ELi2ENSB_IJLi1ELi32ELi1ELi8EEEELi8ELNS_26BlockGemmPipelineSchedulerE0ELNS_24BlockGemmPipelineVersionE2EDF16bDF16bLb0ELb0ELb0ELi0ELb0EEELb1ELNS_25InMemoryDataOperationEnumE1ELi2ELNS_10TailNumberE10EEEvNT_8ArgumentE.uses_flat_scratch, 0
	.set _ZN2ck27kernel_gemm_xdl_cshuffle_v3INS_28GridwiseGemm_xdl_cshuffle_v3INS_13tensor_layout4gemm8RowMajorENS3_11ColumnMajorES4_DF16bDF16bfDF16bDF16bNS_16tensor_operation12element_wise11PassThroughES8_S8_LNS6_6device18GemmSpecializationE0ELi256ELi128ELi128ELi64ELi8ELi8ELi16ELi16ELi4ELi4ENS_8SequenceIJLi8ELi32ELi1EEEENSB_IJLi1ELi0ELi2EEEESD_Li2ELi8ELi8ELb0ELi0ESC_SD_SD_Li2ELi8ELi8ELb0ELi0ELi1ELi2ENSB_IJLi1ELi32ELi1ELi8EEEELi8ELNS_26BlockGemmPipelineSchedulerE0ELNS_24BlockGemmPipelineVersionE2EDF16bDF16bLb0ELb0ELb0ELi0ELb0EEELb1ELNS_25InMemoryDataOperationEnumE1ELi2ELNS_10TailNumberE10EEEvNT_8ArgumentE.has_dyn_sized_stack, 0
	.set _ZN2ck27kernel_gemm_xdl_cshuffle_v3INS_28GridwiseGemm_xdl_cshuffle_v3INS_13tensor_layout4gemm8RowMajorENS3_11ColumnMajorES4_DF16bDF16bfDF16bDF16bNS_16tensor_operation12element_wise11PassThroughES8_S8_LNS6_6device18GemmSpecializationE0ELi256ELi128ELi128ELi64ELi8ELi8ELi16ELi16ELi4ELi4ENS_8SequenceIJLi8ELi32ELi1EEEENSB_IJLi1ELi0ELi2EEEESD_Li2ELi8ELi8ELb0ELi0ESC_SD_SD_Li2ELi8ELi8ELb0ELi0ELi1ELi2ENSB_IJLi1ELi32ELi1ELi8EEEELi8ELNS_26BlockGemmPipelineSchedulerE0ELNS_24BlockGemmPipelineVersionE2EDF16bDF16bLb0ELb0ELb0ELi0ELb0EEELb1ELNS_25InMemoryDataOperationEnumE1ELi2ELNS_10TailNumberE10EEEvNT_8ArgumentE.has_recursion, 0
	.set _ZN2ck27kernel_gemm_xdl_cshuffle_v3INS_28GridwiseGemm_xdl_cshuffle_v3INS_13tensor_layout4gemm8RowMajorENS3_11ColumnMajorES4_DF16bDF16bfDF16bDF16bNS_16tensor_operation12element_wise11PassThroughES8_S8_LNS6_6device18GemmSpecializationE0ELi256ELi128ELi128ELi64ELi8ELi8ELi16ELi16ELi4ELi4ENS_8SequenceIJLi8ELi32ELi1EEEENSB_IJLi1ELi0ELi2EEEESD_Li2ELi8ELi8ELb0ELi0ESC_SD_SD_Li2ELi8ELi8ELb0ELi0ELi1ELi2ENSB_IJLi1ELi32ELi1ELi8EEEELi8ELNS_26BlockGemmPipelineSchedulerE0ELNS_24BlockGemmPipelineVersionE2EDF16bDF16bLb0ELb0ELb0ELi0ELb0EEELb1ELNS_25InMemoryDataOperationEnumE1ELi2ELNS_10TailNumberE10EEEvNT_8ArgumentE.has_indirect_call, 0
	.section	.AMDGPU.csdata,"",@progbits
; Kernel info:
; codeLenInByte = 4
; TotalNumSgprs: 0
; NumVgprs: 0
; ScratchSize: 0
; MemoryBound: 0
; FloatMode: 240
; IeeeMode: 1
; LDSByteSize: 0 bytes/workgroup (compile time only)
; SGPRBlocks: 0
; VGPRBlocks: 0
; NumSGPRsForWavesPerEU: 1
; NumVGPRsForWavesPerEU: 1
; Occupancy: 16
; WaveLimiterHint : 0
; COMPUTE_PGM_RSRC2:SCRATCH_EN: 0
; COMPUTE_PGM_RSRC2:USER_SGPR: 2
; COMPUTE_PGM_RSRC2:TRAP_HANDLER: 0
; COMPUTE_PGM_RSRC2:TGID_X_EN: 1
; COMPUTE_PGM_RSRC2:TGID_Y_EN: 0
; COMPUTE_PGM_RSRC2:TGID_Z_EN: 0
; COMPUTE_PGM_RSRC2:TIDIG_COMP_CNT: 0
	.section	.text._ZN2ck27kernel_gemm_xdl_cshuffle_v3INS_28GridwiseGemm_xdl_cshuffle_v3INS_13tensor_layout4gemm8RowMajorENS3_11ColumnMajorES4_DF16bDF16bfDF16bDF16bNS_16tensor_operation12element_wise11PassThroughES8_S8_LNS6_6device18GemmSpecializationE0ELi256ELi128ELi128ELi64ELi8ELi8ELi16ELi16ELi4ELi4ENS_8SequenceIJLi8ELi32ELi1EEEENSB_IJLi1ELi0ELi2EEEESD_Li2ELi8ELi8ELb0ELi0ESC_SD_SD_Li2ELi8ELi8ELb0ELi0ELi1ELi2ENSB_IJLi1ELi32ELi1ELi8EEEELi8ELNS_26BlockGemmPipelineSchedulerE0ELNS_24BlockGemmPipelineVersionE2EDF16bDF16bLb0ELb0ELb0ELi0ELb0EEELb1ELNS_25InMemoryDataOperationEnumE0ELi2ELNS_10TailNumberE10EEEvNT_8ArgumentE,"axG",@progbits,_ZN2ck27kernel_gemm_xdl_cshuffle_v3INS_28GridwiseGemm_xdl_cshuffle_v3INS_13tensor_layout4gemm8RowMajorENS3_11ColumnMajorES4_DF16bDF16bfDF16bDF16bNS_16tensor_operation12element_wise11PassThroughES8_S8_LNS6_6device18GemmSpecializationE0ELi256ELi128ELi128ELi64ELi8ELi8ELi16ELi16ELi4ELi4ENS_8SequenceIJLi8ELi32ELi1EEEENSB_IJLi1ELi0ELi2EEEESD_Li2ELi8ELi8ELb0ELi0ESC_SD_SD_Li2ELi8ELi8ELb0ELi0ELi1ELi2ENSB_IJLi1ELi32ELi1ELi8EEEELi8ELNS_26BlockGemmPipelineSchedulerE0ELNS_24BlockGemmPipelineVersionE2EDF16bDF16bLb0ELb0ELb0ELi0ELb0EEELb1ELNS_25InMemoryDataOperationEnumE0ELi2ELNS_10TailNumberE10EEEvNT_8ArgumentE,comdat
	.protected	_ZN2ck27kernel_gemm_xdl_cshuffle_v3INS_28GridwiseGemm_xdl_cshuffle_v3INS_13tensor_layout4gemm8RowMajorENS3_11ColumnMajorES4_DF16bDF16bfDF16bDF16bNS_16tensor_operation12element_wise11PassThroughES8_S8_LNS6_6device18GemmSpecializationE0ELi256ELi128ELi128ELi64ELi8ELi8ELi16ELi16ELi4ELi4ENS_8SequenceIJLi8ELi32ELi1EEEENSB_IJLi1ELi0ELi2EEEESD_Li2ELi8ELi8ELb0ELi0ESC_SD_SD_Li2ELi8ELi8ELb0ELi0ELi1ELi2ENSB_IJLi1ELi32ELi1ELi8EEEELi8ELNS_26BlockGemmPipelineSchedulerE0ELNS_24BlockGemmPipelineVersionE2EDF16bDF16bLb0ELb0ELb0ELi0ELb0EEELb1ELNS_25InMemoryDataOperationEnumE0ELi2ELNS_10TailNumberE10EEEvNT_8ArgumentE ; -- Begin function _ZN2ck27kernel_gemm_xdl_cshuffle_v3INS_28GridwiseGemm_xdl_cshuffle_v3INS_13tensor_layout4gemm8RowMajorENS3_11ColumnMajorES4_DF16bDF16bfDF16bDF16bNS_16tensor_operation12element_wise11PassThroughES8_S8_LNS6_6device18GemmSpecializationE0ELi256ELi128ELi128ELi64ELi8ELi8ELi16ELi16ELi4ELi4ENS_8SequenceIJLi8ELi32ELi1EEEENSB_IJLi1ELi0ELi2EEEESD_Li2ELi8ELi8ELb0ELi0ESC_SD_SD_Li2ELi8ELi8ELb0ELi0ELi1ELi2ENSB_IJLi1ELi32ELi1ELi8EEEELi8ELNS_26BlockGemmPipelineSchedulerE0ELNS_24BlockGemmPipelineVersionE2EDF16bDF16bLb0ELb0ELb0ELi0ELb0EEELb1ELNS_25InMemoryDataOperationEnumE0ELi2ELNS_10TailNumberE10EEEvNT_8ArgumentE
	.globl	_ZN2ck27kernel_gemm_xdl_cshuffle_v3INS_28GridwiseGemm_xdl_cshuffle_v3INS_13tensor_layout4gemm8RowMajorENS3_11ColumnMajorES4_DF16bDF16bfDF16bDF16bNS_16tensor_operation12element_wise11PassThroughES8_S8_LNS6_6device18GemmSpecializationE0ELi256ELi128ELi128ELi64ELi8ELi8ELi16ELi16ELi4ELi4ENS_8SequenceIJLi8ELi32ELi1EEEENSB_IJLi1ELi0ELi2EEEESD_Li2ELi8ELi8ELb0ELi0ESC_SD_SD_Li2ELi8ELi8ELb0ELi0ELi1ELi2ENSB_IJLi1ELi32ELi1ELi8EEEELi8ELNS_26BlockGemmPipelineSchedulerE0ELNS_24BlockGemmPipelineVersionE2EDF16bDF16bLb0ELb0ELb0ELi0ELb0EEELb1ELNS_25InMemoryDataOperationEnumE0ELi2ELNS_10TailNumberE10EEEvNT_8ArgumentE
	.p2align	8
	.type	_ZN2ck27kernel_gemm_xdl_cshuffle_v3INS_28GridwiseGemm_xdl_cshuffle_v3INS_13tensor_layout4gemm8RowMajorENS3_11ColumnMajorES4_DF16bDF16bfDF16bDF16bNS_16tensor_operation12element_wise11PassThroughES8_S8_LNS6_6device18GemmSpecializationE0ELi256ELi128ELi128ELi64ELi8ELi8ELi16ELi16ELi4ELi4ENS_8SequenceIJLi8ELi32ELi1EEEENSB_IJLi1ELi0ELi2EEEESD_Li2ELi8ELi8ELb0ELi0ESC_SD_SD_Li2ELi8ELi8ELb0ELi0ELi1ELi2ENSB_IJLi1ELi32ELi1ELi8EEEELi8ELNS_26BlockGemmPipelineSchedulerE0ELNS_24BlockGemmPipelineVersionE2EDF16bDF16bLb0ELb0ELb0ELi0ELb0EEELb1ELNS_25InMemoryDataOperationEnumE0ELi2ELNS_10TailNumberE10EEEvNT_8ArgumentE,@function
_ZN2ck27kernel_gemm_xdl_cshuffle_v3INS_28GridwiseGemm_xdl_cshuffle_v3INS_13tensor_layout4gemm8RowMajorENS3_11ColumnMajorES4_DF16bDF16bfDF16bDF16bNS_16tensor_operation12element_wise11PassThroughES8_S8_LNS6_6device18GemmSpecializationE0ELi256ELi128ELi128ELi64ELi8ELi8ELi16ELi16ELi4ELi4ENS_8SequenceIJLi8ELi32ELi1EEEENSB_IJLi1ELi0ELi2EEEESD_Li2ELi8ELi8ELb0ELi0ESC_SD_SD_Li2ELi8ELi8ELb0ELi0ELi1ELi2ENSB_IJLi1ELi32ELi1ELi8EEEELi8ELNS_26BlockGemmPipelineSchedulerE0ELNS_24BlockGemmPipelineVersionE2EDF16bDF16bLb0ELb0ELb0ELi0ELb0EEELb1ELNS_25InMemoryDataOperationEnumE0ELi2ELNS_10TailNumberE10EEEvNT_8ArgumentE: ; @_ZN2ck27kernel_gemm_xdl_cshuffle_v3INS_28GridwiseGemm_xdl_cshuffle_v3INS_13tensor_layout4gemm8RowMajorENS3_11ColumnMajorES4_DF16bDF16bfDF16bDF16bNS_16tensor_operation12element_wise11PassThroughES8_S8_LNS6_6device18GemmSpecializationE0ELi256ELi128ELi128ELi64ELi8ELi8ELi16ELi16ELi4ELi4ENS_8SequenceIJLi8ELi32ELi1EEEENSB_IJLi1ELi0ELi2EEEESD_Li2ELi8ELi8ELb0ELi0ESC_SD_SD_Li2ELi8ELi8ELb0ELi0ELi1ELi2ENSB_IJLi1ELi32ELi1ELi8EEEELi8ELNS_26BlockGemmPipelineSchedulerE0ELNS_24BlockGemmPipelineVersionE2EDF16bDF16bLb0ELb0ELb0ELi0ELb0EEELb1ELNS_25InMemoryDataOperationEnumE0ELi2ELNS_10TailNumberE10EEEvNT_8ArgumentE
; %bb.0:
	s_endpgm
	.section	.rodata,"a",@progbits
	.p2align	6, 0x0
	.amdhsa_kernel _ZN2ck27kernel_gemm_xdl_cshuffle_v3INS_28GridwiseGemm_xdl_cshuffle_v3INS_13tensor_layout4gemm8RowMajorENS3_11ColumnMajorES4_DF16bDF16bfDF16bDF16bNS_16tensor_operation12element_wise11PassThroughES8_S8_LNS6_6device18GemmSpecializationE0ELi256ELi128ELi128ELi64ELi8ELi8ELi16ELi16ELi4ELi4ENS_8SequenceIJLi8ELi32ELi1EEEENSB_IJLi1ELi0ELi2EEEESD_Li2ELi8ELi8ELb0ELi0ESC_SD_SD_Li2ELi8ELi8ELb0ELi0ELi1ELi2ENSB_IJLi1ELi32ELi1ELi8EEEELi8ELNS_26BlockGemmPipelineSchedulerE0ELNS_24BlockGemmPipelineVersionE2EDF16bDF16bLb0ELb0ELb0ELi0ELb0EEELb1ELNS_25InMemoryDataOperationEnumE0ELi2ELNS_10TailNumberE10EEEvNT_8ArgumentE
		.amdhsa_group_segment_fixed_size 0
		.amdhsa_private_segment_fixed_size 0
		.amdhsa_kernarg_size 112
		.amdhsa_user_sgpr_count 2
		.amdhsa_user_sgpr_dispatch_ptr 0
		.amdhsa_user_sgpr_queue_ptr 0
		.amdhsa_user_sgpr_kernarg_segment_ptr 1
		.amdhsa_user_sgpr_dispatch_id 0
		.amdhsa_user_sgpr_private_segment_size 0
		.amdhsa_wavefront_size32 1
		.amdhsa_uses_dynamic_stack 0
		.amdhsa_enable_private_segment 0
		.amdhsa_system_sgpr_workgroup_id_x 1
		.amdhsa_system_sgpr_workgroup_id_y 0
		.amdhsa_system_sgpr_workgroup_id_z 0
		.amdhsa_system_sgpr_workgroup_info 0
		.amdhsa_system_vgpr_workitem_id 0
		.amdhsa_next_free_vgpr 1
		.amdhsa_next_free_sgpr 1
		.amdhsa_reserve_vcc 0
		.amdhsa_float_round_mode_32 0
		.amdhsa_float_round_mode_16_64 0
		.amdhsa_float_denorm_mode_32 3
		.amdhsa_float_denorm_mode_16_64 3
		.amdhsa_fp16_overflow 0
		.amdhsa_workgroup_processor_mode 1
		.amdhsa_memory_ordered 1
		.amdhsa_forward_progress 1
		.amdhsa_inst_pref_size 1
		.amdhsa_round_robin_scheduling 0
		.amdhsa_exception_fp_ieee_invalid_op 0
		.amdhsa_exception_fp_denorm_src 0
		.amdhsa_exception_fp_ieee_div_zero 0
		.amdhsa_exception_fp_ieee_overflow 0
		.amdhsa_exception_fp_ieee_underflow 0
		.amdhsa_exception_fp_ieee_inexact 0
		.amdhsa_exception_int_div_zero 0
	.end_amdhsa_kernel
	.section	.text._ZN2ck27kernel_gemm_xdl_cshuffle_v3INS_28GridwiseGemm_xdl_cshuffle_v3INS_13tensor_layout4gemm8RowMajorENS3_11ColumnMajorES4_DF16bDF16bfDF16bDF16bNS_16tensor_operation12element_wise11PassThroughES8_S8_LNS6_6device18GemmSpecializationE0ELi256ELi128ELi128ELi64ELi8ELi8ELi16ELi16ELi4ELi4ENS_8SequenceIJLi8ELi32ELi1EEEENSB_IJLi1ELi0ELi2EEEESD_Li2ELi8ELi8ELb0ELi0ESC_SD_SD_Li2ELi8ELi8ELb0ELi0ELi1ELi2ENSB_IJLi1ELi32ELi1ELi8EEEELi8ELNS_26BlockGemmPipelineSchedulerE0ELNS_24BlockGemmPipelineVersionE2EDF16bDF16bLb0ELb0ELb0ELi0ELb0EEELb1ELNS_25InMemoryDataOperationEnumE0ELi2ELNS_10TailNumberE10EEEvNT_8ArgumentE,"axG",@progbits,_ZN2ck27kernel_gemm_xdl_cshuffle_v3INS_28GridwiseGemm_xdl_cshuffle_v3INS_13tensor_layout4gemm8RowMajorENS3_11ColumnMajorES4_DF16bDF16bfDF16bDF16bNS_16tensor_operation12element_wise11PassThroughES8_S8_LNS6_6device18GemmSpecializationE0ELi256ELi128ELi128ELi64ELi8ELi8ELi16ELi16ELi4ELi4ENS_8SequenceIJLi8ELi32ELi1EEEENSB_IJLi1ELi0ELi2EEEESD_Li2ELi8ELi8ELb0ELi0ESC_SD_SD_Li2ELi8ELi8ELb0ELi0ELi1ELi2ENSB_IJLi1ELi32ELi1ELi8EEEELi8ELNS_26BlockGemmPipelineSchedulerE0ELNS_24BlockGemmPipelineVersionE2EDF16bDF16bLb0ELb0ELb0ELi0ELb0EEELb1ELNS_25InMemoryDataOperationEnumE0ELi2ELNS_10TailNumberE10EEEvNT_8ArgumentE,comdat
.Lfunc_end2:
	.size	_ZN2ck27kernel_gemm_xdl_cshuffle_v3INS_28GridwiseGemm_xdl_cshuffle_v3INS_13tensor_layout4gemm8RowMajorENS3_11ColumnMajorES4_DF16bDF16bfDF16bDF16bNS_16tensor_operation12element_wise11PassThroughES8_S8_LNS6_6device18GemmSpecializationE0ELi256ELi128ELi128ELi64ELi8ELi8ELi16ELi16ELi4ELi4ENS_8SequenceIJLi8ELi32ELi1EEEENSB_IJLi1ELi0ELi2EEEESD_Li2ELi8ELi8ELb0ELi0ESC_SD_SD_Li2ELi8ELi8ELb0ELi0ELi1ELi2ENSB_IJLi1ELi32ELi1ELi8EEEELi8ELNS_26BlockGemmPipelineSchedulerE0ELNS_24BlockGemmPipelineVersionE2EDF16bDF16bLb0ELb0ELb0ELi0ELb0EEELb1ELNS_25InMemoryDataOperationEnumE0ELi2ELNS_10TailNumberE10EEEvNT_8ArgumentE, .Lfunc_end2-_ZN2ck27kernel_gemm_xdl_cshuffle_v3INS_28GridwiseGemm_xdl_cshuffle_v3INS_13tensor_layout4gemm8RowMajorENS3_11ColumnMajorES4_DF16bDF16bfDF16bDF16bNS_16tensor_operation12element_wise11PassThroughES8_S8_LNS6_6device18GemmSpecializationE0ELi256ELi128ELi128ELi64ELi8ELi8ELi16ELi16ELi4ELi4ENS_8SequenceIJLi8ELi32ELi1EEEENSB_IJLi1ELi0ELi2EEEESD_Li2ELi8ELi8ELb0ELi0ESC_SD_SD_Li2ELi8ELi8ELb0ELi0ELi1ELi2ENSB_IJLi1ELi32ELi1ELi8EEEELi8ELNS_26BlockGemmPipelineSchedulerE0ELNS_24BlockGemmPipelineVersionE2EDF16bDF16bLb0ELb0ELb0ELi0ELb0EEELb1ELNS_25InMemoryDataOperationEnumE0ELi2ELNS_10TailNumberE10EEEvNT_8ArgumentE
                                        ; -- End function
	.set _ZN2ck27kernel_gemm_xdl_cshuffle_v3INS_28GridwiseGemm_xdl_cshuffle_v3INS_13tensor_layout4gemm8RowMajorENS3_11ColumnMajorES4_DF16bDF16bfDF16bDF16bNS_16tensor_operation12element_wise11PassThroughES8_S8_LNS6_6device18GemmSpecializationE0ELi256ELi128ELi128ELi64ELi8ELi8ELi16ELi16ELi4ELi4ENS_8SequenceIJLi8ELi32ELi1EEEENSB_IJLi1ELi0ELi2EEEESD_Li2ELi8ELi8ELb0ELi0ESC_SD_SD_Li2ELi8ELi8ELb0ELi0ELi1ELi2ENSB_IJLi1ELi32ELi1ELi8EEEELi8ELNS_26BlockGemmPipelineSchedulerE0ELNS_24BlockGemmPipelineVersionE2EDF16bDF16bLb0ELb0ELb0ELi0ELb0EEELb1ELNS_25InMemoryDataOperationEnumE0ELi2ELNS_10TailNumberE10EEEvNT_8ArgumentE.num_vgpr, 0
	.set _ZN2ck27kernel_gemm_xdl_cshuffle_v3INS_28GridwiseGemm_xdl_cshuffle_v3INS_13tensor_layout4gemm8RowMajorENS3_11ColumnMajorES4_DF16bDF16bfDF16bDF16bNS_16tensor_operation12element_wise11PassThroughES8_S8_LNS6_6device18GemmSpecializationE0ELi256ELi128ELi128ELi64ELi8ELi8ELi16ELi16ELi4ELi4ENS_8SequenceIJLi8ELi32ELi1EEEENSB_IJLi1ELi0ELi2EEEESD_Li2ELi8ELi8ELb0ELi0ESC_SD_SD_Li2ELi8ELi8ELb0ELi0ELi1ELi2ENSB_IJLi1ELi32ELi1ELi8EEEELi8ELNS_26BlockGemmPipelineSchedulerE0ELNS_24BlockGemmPipelineVersionE2EDF16bDF16bLb0ELb0ELb0ELi0ELb0EEELb1ELNS_25InMemoryDataOperationEnumE0ELi2ELNS_10TailNumberE10EEEvNT_8ArgumentE.num_agpr, 0
	.set _ZN2ck27kernel_gemm_xdl_cshuffle_v3INS_28GridwiseGemm_xdl_cshuffle_v3INS_13tensor_layout4gemm8RowMajorENS3_11ColumnMajorES4_DF16bDF16bfDF16bDF16bNS_16tensor_operation12element_wise11PassThroughES8_S8_LNS6_6device18GemmSpecializationE0ELi256ELi128ELi128ELi64ELi8ELi8ELi16ELi16ELi4ELi4ENS_8SequenceIJLi8ELi32ELi1EEEENSB_IJLi1ELi0ELi2EEEESD_Li2ELi8ELi8ELb0ELi0ESC_SD_SD_Li2ELi8ELi8ELb0ELi0ELi1ELi2ENSB_IJLi1ELi32ELi1ELi8EEEELi8ELNS_26BlockGemmPipelineSchedulerE0ELNS_24BlockGemmPipelineVersionE2EDF16bDF16bLb0ELb0ELb0ELi0ELb0EEELb1ELNS_25InMemoryDataOperationEnumE0ELi2ELNS_10TailNumberE10EEEvNT_8ArgumentE.numbered_sgpr, 0
	.set _ZN2ck27kernel_gemm_xdl_cshuffle_v3INS_28GridwiseGemm_xdl_cshuffle_v3INS_13tensor_layout4gemm8RowMajorENS3_11ColumnMajorES4_DF16bDF16bfDF16bDF16bNS_16tensor_operation12element_wise11PassThroughES8_S8_LNS6_6device18GemmSpecializationE0ELi256ELi128ELi128ELi64ELi8ELi8ELi16ELi16ELi4ELi4ENS_8SequenceIJLi8ELi32ELi1EEEENSB_IJLi1ELi0ELi2EEEESD_Li2ELi8ELi8ELb0ELi0ESC_SD_SD_Li2ELi8ELi8ELb0ELi0ELi1ELi2ENSB_IJLi1ELi32ELi1ELi8EEEELi8ELNS_26BlockGemmPipelineSchedulerE0ELNS_24BlockGemmPipelineVersionE2EDF16bDF16bLb0ELb0ELb0ELi0ELb0EEELb1ELNS_25InMemoryDataOperationEnumE0ELi2ELNS_10TailNumberE10EEEvNT_8ArgumentE.num_named_barrier, 0
	.set _ZN2ck27kernel_gemm_xdl_cshuffle_v3INS_28GridwiseGemm_xdl_cshuffle_v3INS_13tensor_layout4gemm8RowMajorENS3_11ColumnMajorES4_DF16bDF16bfDF16bDF16bNS_16tensor_operation12element_wise11PassThroughES8_S8_LNS6_6device18GemmSpecializationE0ELi256ELi128ELi128ELi64ELi8ELi8ELi16ELi16ELi4ELi4ENS_8SequenceIJLi8ELi32ELi1EEEENSB_IJLi1ELi0ELi2EEEESD_Li2ELi8ELi8ELb0ELi0ESC_SD_SD_Li2ELi8ELi8ELb0ELi0ELi1ELi2ENSB_IJLi1ELi32ELi1ELi8EEEELi8ELNS_26BlockGemmPipelineSchedulerE0ELNS_24BlockGemmPipelineVersionE2EDF16bDF16bLb0ELb0ELb0ELi0ELb0EEELb1ELNS_25InMemoryDataOperationEnumE0ELi2ELNS_10TailNumberE10EEEvNT_8ArgumentE.private_seg_size, 0
	.set _ZN2ck27kernel_gemm_xdl_cshuffle_v3INS_28GridwiseGemm_xdl_cshuffle_v3INS_13tensor_layout4gemm8RowMajorENS3_11ColumnMajorES4_DF16bDF16bfDF16bDF16bNS_16tensor_operation12element_wise11PassThroughES8_S8_LNS6_6device18GemmSpecializationE0ELi256ELi128ELi128ELi64ELi8ELi8ELi16ELi16ELi4ELi4ENS_8SequenceIJLi8ELi32ELi1EEEENSB_IJLi1ELi0ELi2EEEESD_Li2ELi8ELi8ELb0ELi0ESC_SD_SD_Li2ELi8ELi8ELb0ELi0ELi1ELi2ENSB_IJLi1ELi32ELi1ELi8EEEELi8ELNS_26BlockGemmPipelineSchedulerE0ELNS_24BlockGemmPipelineVersionE2EDF16bDF16bLb0ELb0ELb0ELi0ELb0EEELb1ELNS_25InMemoryDataOperationEnumE0ELi2ELNS_10TailNumberE10EEEvNT_8ArgumentE.uses_vcc, 0
	.set _ZN2ck27kernel_gemm_xdl_cshuffle_v3INS_28GridwiseGemm_xdl_cshuffle_v3INS_13tensor_layout4gemm8RowMajorENS3_11ColumnMajorES4_DF16bDF16bfDF16bDF16bNS_16tensor_operation12element_wise11PassThroughES8_S8_LNS6_6device18GemmSpecializationE0ELi256ELi128ELi128ELi64ELi8ELi8ELi16ELi16ELi4ELi4ENS_8SequenceIJLi8ELi32ELi1EEEENSB_IJLi1ELi0ELi2EEEESD_Li2ELi8ELi8ELb0ELi0ESC_SD_SD_Li2ELi8ELi8ELb0ELi0ELi1ELi2ENSB_IJLi1ELi32ELi1ELi8EEEELi8ELNS_26BlockGemmPipelineSchedulerE0ELNS_24BlockGemmPipelineVersionE2EDF16bDF16bLb0ELb0ELb0ELi0ELb0EEELb1ELNS_25InMemoryDataOperationEnumE0ELi2ELNS_10TailNumberE10EEEvNT_8ArgumentE.uses_flat_scratch, 0
	.set _ZN2ck27kernel_gemm_xdl_cshuffle_v3INS_28GridwiseGemm_xdl_cshuffle_v3INS_13tensor_layout4gemm8RowMajorENS3_11ColumnMajorES4_DF16bDF16bfDF16bDF16bNS_16tensor_operation12element_wise11PassThroughES8_S8_LNS6_6device18GemmSpecializationE0ELi256ELi128ELi128ELi64ELi8ELi8ELi16ELi16ELi4ELi4ENS_8SequenceIJLi8ELi32ELi1EEEENSB_IJLi1ELi0ELi2EEEESD_Li2ELi8ELi8ELb0ELi0ESC_SD_SD_Li2ELi8ELi8ELb0ELi0ELi1ELi2ENSB_IJLi1ELi32ELi1ELi8EEEELi8ELNS_26BlockGemmPipelineSchedulerE0ELNS_24BlockGemmPipelineVersionE2EDF16bDF16bLb0ELb0ELb0ELi0ELb0EEELb1ELNS_25InMemoryDataOperationEnumE0ELi2ELNS_10TailNumberE10EEEvNT_8ArgumentE.has_dyn_sized_stack, 0
	.set _ZN2ck27kernel_gemm_xdl_cshuffle_v3INS_28GridwiseGemm_xdl_cshuffle_v3INS_13tensor_layout4gemm8RowMajorENS3_11ColumnMajorES4_DF16bDF16bfDF16bDF16bNS_16tensor_operation12element_wise11PassThroughES8_S8_LNS6_6device18GemmSpecializationE0ELi256ELi128ELi128ELi64ELi8ELi8ELi16ELi16ELi4ELi4ENS_8SequenceIJLi8ELi32ELi1EEEENSB_IJLi1ELi0ELi2EEEESD_Li2ELi8ELi8ELb0ELi0ESC_SD_SD_Li2ELi8ELi8ELb0ELi0ELi1ELi2ENSB_IJLi1ELi32ELi1ELi8EEEELi8ELNS_26BlockGemmPipelineSchedulerE0ELNS_24BlockGemmPipelineVersionE2EDF16bDF16bLb0ELb0ELb0ELi0ELb0EEELb1ELNS_25InMemoryDataOperationEnumE0ELi2ELNS_10TailNumberE10EEEvNT_8ArgumentE.has_recursion, 0
	.set _ZN2ck27kernel_gemm_xdl_cshuffle_v3INS_28GridwiseGemm_xdl_cshuffle_v3INS_13tensor_layout4gemm8RowMajorENS3_11ColumnMajorES4_DF16bDF16bfDF16bDF16bNS_16tensor_operation12element_wise11PassThroughES8_S8_LNS6_6device18GemmSpecializationE0ELi256ELi128ELi128ELi64ELi8ELi8ELi16ELi16ELi4ELi4ENS_8SequenceIJLi8ELi32ELi1EEEENSB_IJLi1ELi0ELi2EEEESD_Li2ELi8ELi8ELb0ELi0ESC_SD_SD_Li2ELi8ELi8ELb0ELi0ELi1ELi2ENSB_IJLi1ELi32ELi1ELi8EEEELi8ELNS_26BlockGemmPipelineSchedulerE0ELNS_24BlockGemmPipelineVersionE2EDF16bDF16bLb0ELb0ELb0ELi0ELb0EEELb1ELNS_25InMemoryDataOperationEnumE0ELi2ELNS_10TailNumberE10EEEvNT_8ArgumentE.has_indirect_call, 0
	.section	.AMDGPU.csdata,"",@progbits
; Kernel info:
; codeLenInByte = 4
; TotalNumSgprs: 0
; NumVgprs: 0
; ScratchSize: 0
; MemoryBound: 0
; FloatMode: 240
; IeeeMode: 1
; LDSByteSize: 0 bytes/workgroup (compile time only)
; SGPRBlocks: 0
; VGPRBlocks: 0
; NumSGPRsForWavesPerEU: 1
; NumVGPRsForWavesPerEU: 1
; Occupancy: 16
; WaveLimiterHint : 0
; COMPUTE_PGM_RSRC2:SCRATCH_EN: 0
; COMPUTE_PGM_RSRC2:USER_SGPR: 2
; COMPUTE_PGM_RSRC2:TRAP_HANDLER: 0
; COMPUTE_PGM_RSRC2:TGID_X_EN: 1
; COMPUTE_PGM_RSRC2:TGID_Y_EN: 0
; COMPUTE_PGM_RSRC2:TGID_Z_EN: 0
; COMPUTE_PGM_RSRC2:TIDIG_COMP_CNT: 0
	.section	.text._ZN2ck27kernel_gemm_xdl_cshuffle_v3INS_28GridwiseGemm_xdl_cshuffle_v3INS_13tensor_layout4gemm8RowMajorENS3_11ColumnMajorES4_DF16bDF16bfDF16bDF16bNS_16tensor_operation12element_wise11PassThroughES8_S8_LNS6_6device18GemmSpecializationE0ELi256ELi128ELi128ELi64ELi8ELi8ELi16ELi16ELi4ELi2ENS_8SequenceIJLi8ELi32ELi1EEEENSB_IJLi1ELi0ELi2EEEESD_Li2ELi8ELi8ELb0ELi0ESC_SD_SD_Li2ELi8ELi8ELb0ELi0ELi1ELi2ENSB_IJLi1ELi32ELi1ELi8EEEELi8ELNS_26BlockGemmPipelineSchedulerE0ELNS_24BlockGemmPipelineVersionE2EDF16bDF16bLb0ELb0ELb0ELi0ELb0EEELb1ELNS_25InMemoryDataOperationEnumE1ELi2ELNS_10TailNumberE10EEEvNT_8ArgumentE,"axG",@progbits,_ZN2ck27kernel_gemm_xdl_cshuffle_v3INS_28GridwiseGemm_xdl_cshuffle_v3INS_13tensor_layout4gemm8RowMajorENS3_11ColumnMajorES4_DF16bDF16bfDF16bDF16bNS_16tensor_operation12element_wise11PassThroughES8_S8_LNS6_6device18GemmSpecializationE0ELi256ELi128ELi128ELi64ELi8ELi8ELi16ELi16ELi4ELi2ENS_8SequenceIJLi8ELi32ELi1EEEENSB_IJLi1ELi0ELi2EEEESD_Li2ELi8ELi8ELb0ELi0ESC_SD_SD_Li2ELi8ELi8ELb0ELi0ELi1ELi2ENSB_IJLi1ELi32ELi1ELi8EEEELi8ELNS_26BlockGemmPipelineSchedulerE0ELNS_24BlockGemmPipelineVersionE2EDF16bDF16bLb0ELb0ELb0ELi0ELb0EEELb1ELNS_25InMemoryDataOperationEnumE1ELi2ELNS_10TailNumberE10EEEvNT_8ArgumentE,comdat
	.protected	_ZN2ck27kernel_gemm_xdl_cshuffle_v3INS_28GridwiseGemm_xdl_cshuffle_v3INS_13tensor_layout4gemm8RowMajorENS3_11ColumnMajorES4_DF16bDF16bfDF16bDF16bNS_16tensor_operation12element_wise11PassThroughES8_S8_LNS6_6device18GemmSpecializationE0ELi256ELi128ELi128ELi64ELi8ELi8ELi16ELi16ELi4ELi2ENS_8SequenceIJLi8ELi32ELi1EEEENSB_IJLi1ELi0ELi2EEEESD_Li2ELi8ELi8ELb0ELi0ESC_SD_SD_Li2ELi8ELi8ELb0ELi0ELi1ELi2ENSB_IJLi1ELi32ELi1ELi8EEEELi8ELNS_26BlockGemmPipelineSchedulerE0ELNS_24BlockGemmPipelineVersionE2EDF16bDF16bLb0ELb0ELb0ELi0ELb0EEELb1ELNS_25InMemoryDataOperationEnumE1ELi2ELNS_10TailNumberE10EEEvNT_8ArgumentE ; -- Begin function _ZN2ck27kernel_gemm_xdl_cshuffle_v3INS_28GridwiseGemm_xdl_cshuffle_v3INS_13tensor_layout4gemm8RowMajorENS3_11ColumnMajorES4_DF16bDF16bfDF16bDF16bNS_16tensor_operation12element_wise11PassThroughES8_S8_LNS6_6device18GemmSpecializationE0ELi256ELi128ELi128ELi64ELi8ELi8ELi16ELi16ELi4ELi2ENS_8SequenceIJLi8ELi32ELi1EEEENSB_IJLi1ELi0ELi2EEEESD_Li2ELi8ELi8ELb0ELi0ESC_SD_SD_Li2ELi8ELi8ELb0ELi0ELi1ELi2ENSB_IJLi1ELi32ELi1ELi8EEEELi8ELNS_26BlockGemmPipelineSchedulerE0ELNS_24BlockGemmPipelineVersionE2EDF16bDF16bLb0ELb0ELb0ELi0ELb0EEELb1ELNS_25InMemoryDataOperationEnumE1ELi2ELNS_10TailNumberE10EEEvNT_8ArgumentE
	.globl	_ZN2ck27kernel_gemm_xdl_cshuffle_v3INS_28GridwiseGemm_xdl_cshuffle_v3INS_13tensor_layout4gemm8RowMajorENS3_11ColumnMajorES4_DF16bDF16bfDF16bDF16bNS_16tensor_operation12element_wise11PassThroughES8_S8_LNS6_6device18GemmSpecializationE0ELi256ELi128ELi128ELi64ELi8ELi8ELi16ELi16ELi4ELi2ENS_8SequenceIJLi8ELi32ELi1EEEENSB_IJLi1ELi0ELi2EEEESD_Li2ELi8ELi8ELb0ELi0ESC_SD_SD_Li2ELi8ELi8ELb0ELi0ELi1ELi2ENSB_IJLi1ELi32ELi1ELi8EEEELi8ELNS_26BlockGemmPipelineSchedulerE0ELNS_24BlockGemmPipelineVersionE2EDF16bDF16bLb0ELb0ELb0ELi0ELb0EEELb1ELNS_25InMemoryDataOperationEnumE1ELi2ELNS_10TailNumberE10EEEvNT_8ArgumentE
	.p2align	8
	.type	_ZN2ck27kernel_gemm_xdl_cshuffle_v3INS_28GridwiseGemm_xdl_cshuffle_v3INS_13tensor_layout4gemm8RowMajorENS3_11ColumnMajorES4_DF16bDF16bfDF16bDF16bNS_16tensor_operation12element_wise11PassThroughES8_S8_LNS6_6device18GemmSpecializationE0ELi256ELi128ELi128ELi64ELi8ELi8ELi16ELi16ELi4ELi2ENS_8SequenceIJLi8ELi32ELi1EEEENSB_IJLi1ELi0ELi2EEEESD_Li2ELi8ELi8ELb0ELi0ESC_SD_SD_Li2ELi8ELi8ELb0ELi0ELi1ELi2ENSB_IJLi1ELi32ELi1ELi8EEEELi8ELNS_26BlockGemmPipelineSchedulerE0ELNS_24BlockGemmPipelineVersionE2EDF16bDF16bLb0ELb0ELb0ELi0ELb0EEELb1ELNS_25InMemoryDataOperationEnumE1ELi2ELNS_10TailNumberE10EEEvNT_8ArgumentE,@function
_ZN2ck27kernel_gemm_xdl_cshuffle_v3INS_28GridwiseGemm_xdl_cshuffle_v3INS_13tensor_layout4gemm8RowMajorENS3_11ColumnMajorES4_DF16bDF16bfDF16bDF16bNS_16tensor_operation12element_wise11PassThroughES8_S8_LNS6_6device18GemmSpecializationE0ELi256ELi128ELi128ELi64ELi8ELi8ELi16ELi16ELi4ELi2ENS_8SequenceIJLi8ELi32ELi1EEEENSB_IJLi1ELi0ELi2EEEESD_Li2ELi8ELi8ELb0ELi0ESC_SD_SD_Li2ELi8ELi8ELb0ELi0ELi1ELi2ENSB_IJLi1ELi32ELi1ELi8EEEELi8ELNS_26BlockGemmPipelineSchedulerE0ELNS_24BlockGemmPipelineVersionE2EDF16bDF16bLb0ELb0ELb0ELi0ELb0EEELb1ELNS_25InMemoryDataOperationEnumE1ELi2ELNS_10TailNumberE10EEEvNT_8ArgumentE: ; @_ZN2ck27kernel_gemm_xdl_cshuffle_v3INS_28GridwiseGemm_xdl_cshuffle_v3INS_13tensor_layout4gemm8RowMajorENS3_11ColumnMajorES4_DF16bDF16bfDF16bDF16bNS_16tensor_operation12element_wise11PassThroughES8_S8_LNS6_6device18GemmSpecializationE0ELi256ELi128ELi128ELi64ELi8ELi8ELi16ELi16ELi4ELi2ENS_8SequenceIJLi8ELi32ELi1EEEENSB_IJLi1ELi0ELi2EEEESD_Li2ELi8ELi8ELb0ELi0ESC_SD_SD_Li2ELi8ELi8ELb0ELi0ELi1ELi2ENSB_IJLi1ELi32ELi1ELi8EEEELi8ELNS_26BlockGemmPipelineSchedulerE0ELNS_24BlockGemmPipelineVersionE2EDF16bDF16bLb0ELb0ELb0ELi0ELb0EEELb1ELNS_25InMemoryDataOperationEnumE1ELi2ELNS_10TailNumberE10EEEvNT_8ArgumentE
; %bb.0:
	s_clause 0x4
	s_load_b96 s[12:14], s[0:1], 0x20
	s_load_b96 s[16:18], s[0:1], 0x60
	s_load_b128 s[4:7], s[0:1], 0x10
	s_load_b32 s20, s[0:1], 0x3c
	s_load_b128 s[8:11], s[0:1], 0x50
	s_lshr_b32 s21, ttmp7, 16
	s_mov_b32 s23, ttmp9
	s_wait_kmcnt 0x0
	s_cmp_gt_i32 s14, 1
	s_cselect_b32 s2, -1, 0
	s_bitcmp1_b32 s18, 0
	s_mov_b64 s[18:19], 0
	s_cselect_b32 s3, -1, 0
	s_delay_alu instid0(SALU_CYCLE_1) | instskip(NEXT) | instid1(SALU_CYCLE_1)
	s_and_b32 s2, s2, s3
	s_and_not1_b32 vcc_lo, exec_lo, s2
	s_cbranch_vccnz .LBB3_2
; %bb.1:
	s_mul_i32 s2, s4, s21
	s_delay_alu instid0(SALU_CYCLE_1) | instskip(NEXT) | instid1(SALU_CYCLE_1)
	s_mul_i32 s18, s2, s5
	s_ashr_i32 s19, s18, 31
.LBB3_2:
	s_load_b32 s22, s[0:1], 0x34
	s_add_co_i32 s0, s4, -1
	s_mov_b32 s3, 0
	s_cmp_lt_u32 s0, 0x80
	s_cbranch_scc1 .LBB3_6
; %bb.3:
	s_add_co_i32 s0, s5, -1
	s_delay_alu instid0(SALU_CYCLE_1)
	s_cmp_lt_u32 s0, 0x80
	s_mov_b32 s0, 0
	s_cbranch_scc1 .LBB3_10
; %bb.4:
	s_add_co_i32 s0, s4, 0x7f
	s_add_co_i32 s1, s5, 0x7f
	s_ashr_i32 s2, s0, 31
	s_ashr_i32 s15, s1, 31
	s_lshr_b32 s2, s2, 25
	s_lshr_b32 s15, s15, 25
	s_add_co_i32 s0, s0, s2
	s_add_co_i32 s2, s1, s15
	s_ashr_i32 s1, s0, 7
	s_ashr_i32 s0, s2, 7
	;; [unrolled: 1-line block ×3, first 2 shown]
	s_mul_i32 s2, s0, s1
	s_delay_alu instid0(SALU_CYCLE_1) | instskip(NEXT) | instid1(SALU_CYCLE_1)
	s_add_co_i32 s15, s2, 7
	s_ashr_i32 s24, s15, 31
	s_delay_alu instid0(SALU_CYCLE_1) | instskip(NEXT) | instid1(SALU_CYCLE_1)
	s_lshr_b32 s24, s24, 29
	s_add_co_i32 s24, s15, s24
	s_lshr_b32 s15, s25, 29
	s_and_b32 s26, s24, -8
	s_add_co_i32 s25, s23, s15
	s_sub_co_i32 s15, s2, s26
	s_and_b32 s2, s25, -8
	s_add_co_i32 s15, s15, 8
	s_sub_co_i32 s23, s23, s2
	s_ashr_i32 s24, s24, 3
	s_cmp_gt_i32 s23, s15
	s_cbranch_scc1 .LBB3_7
; %bb.5:
	s_mul_i32 s2, s24, s23
	s_ashr_i32 s25, s25, 3
	s_cbranch_execz .LBB3_8
	s_branch .LBB3_9
.LBB3_6:
	s_mov_b32 s15, 0
	s_branch .LBB3_11
.LBB3_7:
                                        ; implicit-def: $sgpr2
	s_ashr_i32 s25, s25, 3
.LBB3_8:
	s_add_co_i32 s2, s24, -1
	s_delay_alu instid0(SALU_CYCLE_1) | instskip(NEXT) | instid1(SALU_CYCLE_1)
	s_mul_i32 s2, s2, s23
	s_add_co_i32 s2, s15, s2
.LBB3_9:
	s_abs_i32 s15, s0
	s_add_co_i32 s2, s2, s25
	s_cvt_f32_u32 s23, s15
	s_sub_co_i32 s24, 0, s15
	s_abs_i32 s25, s2
	s_delay_alu instid0(SALU_CYCLE_1) | instskip(NEXT) | instid1(TRANS32_DEP_1)
	v_rcp_iflag_f32_e32 v1, s23
	v_readfirstlane_b32 s23, v1
	s_mul_f32 s23, s23, 0x4f7ffffe
	s_wait_alu 0xfffe
	s_delay_alu instid0(SALU_CYCLE_2) | instskip(SKIP_1) | instid1(SALU_CYCLE_2)
	s_cvt_u32_f32 s23, s23
	s_wait_alu 0xfffe
	s_mul_i32 s24, s24, s23
	s_delay_alu instid0(SALU_CYCLE_1) | instskip(NEXT) | instid1(SALU_CYCLE_1)
	s_mul_hi_u32 s24, s23, s24
	s_add_co_i32 s23, s23, s24
	s_xor_b32 s24, s2, s0
	s_wait_alu 0xfffe
	s_mul_hi_u32 s23, s25, s23
	s_ashr_i32 s24, s24, 31
	s_wait_alu 0xfffe
	s_mul_i32 s26, s23, s15
	s_delay_alu instid0(SALU_CYCLE_1)
	s_sub_co_i32 s25, s25, s26
	s_add_co_i32 s26, s23, 1
	s_sub_co_i32 s27, s25, s15
	s_cmp_ge_u32 s25, s15
	s_cselect_b32 s23, s26, s23
	s_cselect_b32 s25, s27, s25
	s_wait_alu 0xfffe
	s_add_co_i32 s26, s23, 1
	s_cmp_ge_u32 s25, s15
	s_cselect_b32 s15, s26, s23
	s_lshr_b32 s23, s1, 30
	s_xor_b32 s15, s15, s24
	s_wait_alu 0xfffe
	s_add_co_i32 s23, s1, s23
	s_sub_co_i32 s15, s15, s24
	s_wait_alu 0xfffe
	s_and_b32 s23, s23, -4
	s_mul_i32 s24, s15, s0
	s_wait_alu 0xfffe
	s_sub_co_i32 s1, s1, s23
	s_sub_co_i32 s2, s2, s24
	s_cmp_ge_i32 s15, s23
	s_cselect_b32 s1, s1, 4
	s_ashr_i32 s25, s15, 31
	s_abs_i32 s23, s1
	s_lshr_b32 s25, s25, 30
	s_wait_alu 0xfffe
	s_cvt_f32_u32 s24, s23
	s_add_co_i32 s25, s15, s25
	s_sub_co_i32 s26, 0, s23
	s_and_b32 s25, s25, -4
	v_rcp_iflag_f32_e32 v1, s24
	s_sub_co_i32 s25, s15, s25
	s_wait_alu 0xfffe
	s_mul_i32 s0, s25, s0
	s_delay_alu instid0(SALU_CYCLE_1) | instskip(NEXT) | instid1(TRANS32_DEP_1)
	s_add_co_i32 s2, s0, s2
	v_readfirstlane_b32 s24, v1
	s_mul_f32 s24, s24, 0x4f7ffffe
	s_wait_alu 0xfffe
	s_delay_alu instid0(SALU_CYCLE_2) | instskip(SKIP_1) | instid1(SALU_CYCLE_2)
	s_cvt_u32_f32 s24, s24
	s_wait_alu 0xfffe
	s_mul_i32 s26, s26, s24
	s_delay_alu instid0(SALU_CYCLE_1)
	s_mul_hi_u32 s0, s24, s26
	s_abs_i32 s26, s2
	s_add_co_i32 s24, s24, s0
	s_wait_alu 0xfffe
	s_mul_hi_u32 s0, s26, s24
	s_xor_b32 s24, s2, s1
	s_mul_i32 s27, s0, s23
	s_wait_alu 0xfffe
	s_ashr_i32 s24, s24, 31
	s_sub_co_i32 s26, s26, s27
	s_add_co_i32 s27, s0, 1
	s_sub_co_i32 s28, s26, s23
	s_cmp_ge_u32 s26, s23
	s_cselect_b32 s0, s27, s0
	s_cselect_b32 s26, s28, s26
	s_add_co_i32 s27, s0, 1
	s_cmp_ge_u32 s26, s23
	s_cselect_b32 s0, s27, s0
	s_wait_alu 0xfffe
	s_xor_b32 s0, s0, s24
	s_delay_alu instid0(SALU_CYCLE_1) | instskip(NEXT) | instid1(SALU_CYCLE_1)
	s_sub_co_i32 s0, s0, s24
	s_mul_i32 s1, s0, s1
	s_delay_alu instid0(SALU_CYCLE_1) | instskip(NEXT) | instid1(SALU_CYCLE_1)
	s_sub_co_i32 s1, s2, s1
	s_add_co_i32 s1, s1, s15
	s_delay_alu instid0(SALU_CYCLE_1)
	s_sub_co_i32 s23, s1, s25
.LBB3_10:
	s_wait_alu 0xfffe
	s_mov_b32 s15, s23
	s_mov_b32 s23, s0
.LBB3_11:
	s_wait_kmcnt 0x0
	s_mul_i32 s0, s22, s21
	v_lshrrev_b32_e32 v193, 1, v0
	s_ashr_i32 s1, s0, 31
	s_mov_b32 s2, s7
	s_lshl_b64 s[24:25], s[0:1], 1
	s_add_co_i32 s27, s4, 0x7fffffff
	s_mov_b32 s26, s3
	s_add_co_i32 s14, s14, -1
	s_wait_alu 0xfffe
	s_add_nc_u64 s[0:1], s[8:9], s[24:25]
	s_add_nc_u64 s[8:9], s[10:11], s[24:25]
	s_mul_u64 s[10:11], s[26:27], s[2:3]
	s_mul_i32 s2, s14, s22
	s_add_co_i32 s25, s5, 0x7fffffff
	s_sub_co_i32 s6, s6, s2
	v_and_b32_e32 v1, 0x7c, v193
	s_cmp_lt_u32 s21, s14
	v_and_b32_e32 v3, 7, v0
	s_cselect_b32 s10, s22, s6
	s_lshl_b32 s14, s23, 7
	v_lshl_or_b32 v2, s15, 7, v1
	v_or_b32_e32 v38, s14, v1
	v_and_b32_e32 v37, 4, v193
	v_lshrrev_b32_e32 v6, 2, v0
	v_lshlrev_b32_e32 v5, 3, v3
	v_mul_lo_u32 v39, v2, s7
	v_mul_lo_u32 v40, v38, s12
	v_xor_b32_e32 v4, v37, v3
	v_lshlrev_b32_e32 v1, 6, v1
	v_and_b32_e32 v7, 15, v0
	v_lshrrev_b32_e32 v195, 3, v0
	v_and_b32_e32 v41, 4, v6
	s_ashr_i32 s6, s20, 31
	v_add_nc_u32_e32 v8, v39, v5
	s_wait_alu 0xfffe
	s_lshr_b32 s6, s6, 29
	v_lshl_or_b32 v1, v4, 3, v1
	v_add_nc_u32_e32 v13, v40, v5
	v_and_or_b32 v194, v195, 16, v7
	v_xor_b32_e32 v42, v41, v3
	v_and_or_b32 v43, v193, 48, v7
	s_wait_alu 0xfffe
	s_add_co_i32 s6, s20, s6
	s_mov_b32 s2, s12
	s_mov_b32 s24, s3
	s_wait_alu 0xfffe
	s_ashr_i32 s6, s6, 3
	s_mul_u64 s[20:21], s[24:25], s[2:3]
	; sched_barrier mask(0x00000000)
	v_add_nc_u32_e32 v5, s7, v8
	v_add_nc_u32_e32 v15, s12, v13
	v_lshlrev_b32_e32 v6, 1, v8
	s_add_co_i32 s2, s10, s11
	s_add_co_i32 s10, s10, s21
	v_add_nc_u32_e32 v14, s7, v5
	v_add_nc_u32_e32 v16, s12, v15
	v_lshlrev_b32_e32 v9, 1, v5
	v_lshlrev_b32_e32 v21, 1, v13
	s_mov_b32 s3, 0x31004000
	v_add_nc_u32_e32 v44, s7, v14
	v_add_nc_u32_e32 v45, s12, v16
	v_lshlrev_b32_e32 v14, 1, v14
	s_and_b32 s1, s1, 0xffff
	s_lshl_b32 s2, s2, 1
	v_lshlrev_b32_e32 v17, 1, v44
	s_lshl_b32 s20, s10, 1
	v_lshlrev_b32_e32 v25, 1, v15
	v_lshlrev_b32_e32 v29, 1, v16
	;; [unrolled: 1-line block ×3, first 2 shown]
	s_clause 0x1
	buffer_load_b128 v[5:8], v6, s[0:3], null offen
	buffer_load_b128 v[9:12], v9, s[0:3], null offen
	s_and_b32 s9, s9, 0xffff
	s_mov_b32 s10, s20
	s_mov_b32 s11, s3
	s_clause 0x1
	buffer_load_b128 v[13:16], v14, s[0:3], null offen
	buffer_load_b128 v[17:20], v17, s[0:3], null offen
	s_clause 0x3
	buffer_load_b128 v[21:24], v21, s[8:11], null offen
	buffer_load_b128 v[25:28], v25, s[8:11], null offen
	;; [unrolled: 1-line block ×4, first 2 shown]
	s_mul_i32 s21, s7, -3
	s_mul_i32 s22, s12, -3
	v_add3_u32 v44, s21, 64, v44
	s_wait_alu 0xfffe
	v_add3_u32 v45, s22, 64, v45
	s_delay_alu instid0(VALU_DEP_2) | instskip(NEXT) | instid1(VALU_DEP_2)
	v_add_nc_u32_e32 v46, s7, v44
	v_add_nc_u32_e32 v47, s12, v45
	v_lshlrev_b32_e32 v44, 1, v44
	v_lshlrev_b32_e32 v45, 1, v45
	s_delay_alu instid0(VALU_DEP_4)
	v_lshlrev_b32_e32 v48, 1, v46
	v_add_nc_u32_e32 v46, s7, v46
	v_lshlrev_b32_e32 v49, 1, v47
	v_add_nc_u32_e32 v47, s12, v47
	s_clause 0x1
	buffer_load_b128 v[137:140], v44, s[0:3], null offen
	buffer_load_b128 v[129:132], v48, s[0:3], null offen
	v_lshlrev_b32_e32 v44, 1, v46
	v_add_lshl_u32 v46, v46, s7, 1
	v_lshlrev_b32_e32 v48, 1, v47
	v_add_lshl_u32 v47, v47, s12, 1
	s_clause 0x1
	buffer_load_b128 v[145:148], v45, s[8:11], null offen
	buffer_load_b128 v[133:136], v49, s[8:11], null offen
	s_clause 0x1
	buffer_load_b128 v[153:156], v44, s[0:3], null offen
	buffer_load_b128 v[141:144], v46, s[0:3], null offen
	;; [unrolled: 3-line block ×3, first 2 shown]
	v_or_b32_e32 v45, 1, v37
	v_or_b32_e32 v46, 2, v37
	;; [unrolled: 1-line block ×3, first 2 shown]
	v_lshlrev_b32_e32 v47, 4, v42
	v_or_b32_e32 v48, 1, v41
	v_or_b32_e32 v49, 2, v41
	v_or_b32_e32 v41, 3, v41
	v_xor_b32_e32 v45, v45, v3
	v_xor_b32_e32 v46, v46, v3
	v_lshlrev_b32_e32 v44, 1, v1
	v_xor_b32_e32 v37, v37, v3
	v_lshl_or_b32 v196, v194, 7, v47
	v_lshl_or_b32 v197, v43, 7, v47
	v_xor_b32_e32 v43, v48, v3
	v_xor_b32_e32 v47, v49, v3
	;; [unrolled: 1-line block ×3, first 2 shown]
	v_sub_nc_u32_e32 v48, v45, v4
	v_sub_nc_u32_e32 v45, v46, v45
	;; [unrolled: 1-line block ×6, first 2 shown]
	v_lshl_add_u32 v42, v48, 4, v44
	v_lshlrev_b32_e32 v199, 3, v45
	v_lshlrev_b32_e32 v45, 4, v45
	;; [unrolled: 1-line block ×6, first 2 shown]
	v_add3_u32 v45, 0x80, v42, v45
	v_lshlrev_b32_e32 v41, 4, v41
	v_add_nc_u32_e32 v200, 64, v199
	v_add_nc_u32_e32 v201, v196, v43
	;; [unrolled: 1-line block ×3, first 2 shown]
	v_add3_u32 v43, 0x80, v45, v48
	v_add_nc_u32_e32 v203, v196, v47
	v_add_nc_u32_e32 v204, v197, v47
	;; [unrolled: 1-line block ×4, first 2 shown]
	s_wait_loadcnt 0xf
	ds_store_b128 v44, v[5:8]
	s_wait_loadcnt 0xe
	ds_store_b128 v42, v[9:12] offset:128
	s_wait_loadcnt 0xd
	ds_store_b128 v45, v[13:16] offset:128
	;; [unrolled: 2-line block ×7, first 2 shown]
	s_wait_dscnt 0x0
	s_barrier_signal -1
	s_barrier_wait -1
	ds_load_b128 v[189:192], v196
	ds_load_b128 v[185:188], v196 offset:4096
	ds_load_b128 v[181:184], v196 offset:8192
	ds_load_b128 v[117:120], v196 offset:12288
	ds_load_b128 v[125:128], v197 offset:16384
	ds_load_b128 v[121:124], v197 offset:24576
	ds_load_b128 v[177:180], v201
	ds_load_b128 v[169:172], v201 offset:4096
	ds_load_b128 v[109:112], v201 offset:8192
	ds_load_b128 v[89:92], v201 offset:12288
	ds_load_b128 v[101:104], v202 offset:16384
	ds_load_b128 v[93:96], v202 offset:24576
	;; [unrolled: 6-line block ×4, first 2 shown]
	v_lshlrev_b32_e32 v5, 3, v49
	v_add_nc_u32_e32 v7, v198, v200
	v_sub_nc_u32_e32 v6, v4, v37
	s_delay_alu instid0(VALU_DEP_2) | instskip(NEXT) | instid1(VALU_DEP_2)
	v_add3_u32 v1, v7, v1, v5
	v_lshlrev_b32_e32 v5, 3, v6
	s_delay_alu instid0(VALU_DEP_1)
	v_add3_u32 v207, v1, v5, 0xffffffc0
	; sched_barrier mask(0x00000000)
	v_or_b32_e32 v1, 3, v193
	v_lshlrev_b32_e32 v208, 4, v3
	v_or_b32_e32 v3, 3, v38
	v_or_b32_e32 v8, 3, v2
	;; [unrolled: 1-line block ×3, first 2 shown]
	v_xor_b32_e32 v1, v1, v0
	v_or_b32_e32 v5, 2, v38
	v_mul_lo_u32 v11, s12, v3
	v_mul_lo_u32 v8, s7, v8
	v_mul_lo_u32 v13, s7, v2
	v_and_b32_e32 v9, 7, v1
	v_dual_mov_b32 v1, 0 :: v_dual_add_nc_u32 v6, s12, v40
	v_mul_lo_u32 v12, s12, v5
	v_add_nc_u32_e32 v10, s7, v39
	v_lshl_add_u32 v209, v40, 1, 0x100
	s_delay_alu instid0(VALU_DEP_4) | instskip(SKIP_4) | instid1(VALU_DEP_4)
	v_mov_b32_e32 v2, v1
	v_sub_nc_u32_e32 v3, v9, v46
	v_sub_nc_u32_e32 v9, v4, v9
	v_mov_b32_e32 v4, v1
	v_lshl_add_u32 v210, v39, 1, 0x100
	v_dual_mov_b32 v5, v1 :: v_dual_lshlrev_b32 v212, 3, v3
	v_mov_b32_e32 v3, v1
	v_lshl_add_u32 v211, v6, 1, 0x100
	v_lshlrev_b32_e32 v9, 3, v9
	v_lshl_add_u32 v213, v10, 1, 0x100
	v_add_nc_u32_e32 v214, 64, v212
	v_mov_b32_e32 v6, v1
	v_lshl_add_u32 v215, v11, 1, 0x100
	v_lshl_add_u32 v216, v12, 1, 0x100
	;; [unrolled: 1-line block ×3, first 2 shown]
	v_add_nc_u32_e32 v7, v7, v214
	v_lshl_add_u32 v218, v13, 1, 0x100
	v_dual_mov_b32 v8, v1 :: v_dual_mov_b32 v11, v1
	v_dual_mov_b32 v10, v1 :: v_dual_mov_b32 v13, v1
	s_delay_alu instid0(VALU_DEP_4)
	v_add3_u32 v219, v7, v9, 0xffffff80
	v_mov_b32_e32 v7, v1
	v_dual_mov_b32 v9, v1 :: v_dual_mov_b32 v12, v1
	v_dual_mov_b32 v15, v1 :: v_dual_mov_b32 v14, v1
	;; [unrolled: 1-line block ×26, first 2 shown]
	v_mov_b32_e32 v64, v1
	s_max_i32 s6, s6, 2
	s_wait_alu 0xfffe
	s_add_co_i32 s6, s6, -1
.LBB3_12:                               ; =>This Inner Loop Header: Depth=1
	v_lshlrev_b32_e32 v220, 1, v207
	v_lshlrev_b32_e32 v221, 1, v199
	v_add_nc_u32_e32 v223, v208, v210
	s_wait_dscnt 0x0
	s_barrier_signal -1
	v_lshl_add_u32 v231, v198, 1, v220
	s_barrier_wait -1
	v_lshlrev_b32_e32 v222, 1, v212
	s_wait_loadcnt 0x7
	ds_store_b128 v220, v[137:140]
	v_wmma_f32_16x16x16_bf16 v[57:64], v[125:128], v[189:192], v[57:64]
	buffer_load_b128 v[137:140], v223, s[0:3], null offen
	v_add3_u32 v221, 0x80, v231, v221
	v_lshl_add_u32 v223, v200, 1, v231
	v_add_nc_u32_e32 v224, v208, v213
	v_add_nc_u32_e32 v225, v208, v218
	v_add_nc_u32_e32 v226, v208, v217
	v_add_nc_u32_e32 v227, v208, v209
	v_add_nc_u32_e32 v228, v208, v211
	v_add_nc_u32_e32 v229, v208, v216
	v_add_nc_u32_e32 v230, v208, v215
	s_wait_loadcnt 0x7
	ds_store_b128 v231, v[129:132] offset:128
	v_wmma_f32_16x16x16_bf16 v[49:56], v[121:124], v[189:192], v[49:56]
	v_add3_u32 v189, 0x80, v221, v222
	v_lshl_add_u32 v190, v214, 1, v223
	buffer_load_b128 v[129:132], v224, s[0:3], null offen
	s_wait_loadcnt 0x5
	ds_store_b128 v221, v[153:156] offset:128
	v_wmma_f32_16x16x16_bf16 v[41:48], v[125:128], v[185:188], v[41:48]
	buffer_load_b128 v[153:156], v225, s[0:3], null offen
	s_wait_loadcnt 0x5
	ds_store_b128 v189, v[141:144] offset:128
	v_wmma_f32_16x16x16_bf16 v[33:40], v[121:124], v[185:188], v[33:40]
	buffer_load_b128 v[141:144], v226, s[0:3], null offen
	ds_store_b128 v220, v[145:148] offset:16384
	v_wmma_f32_16x16x16_bf16 v[25:32], v[125:128], v[181:184], v[25:32]
	buffer_load_b128 v[145:148], v227, s[8:11], null offen
	;; [unrolled: 3-line block ×3, first 2 shown]
	s_wait_loadcnt 0x7
	ds_store_b128 v223, v[157:160] offset:16512
	v_wmma_f32_16x16x16_bf16 v[9:16], v[125:128], v[117:120], v[9:16]
	buffer_load_b128 v[157:160], v229, s[8:11], null offen
	s_wait_loadcnt 0x7
	ds_store_b128 v190, v[149:152] offset:16512
	v_wmma_f32_16x16x16_bf16 v[1:8], v[121:124], v[117:120], v[1:8]
	buffer_load_b128 v[149:152], v230, s[8:11], null offen
	s_wait_dscnt 0x0
	s_barrier_signal -1
	s_barrier_wait -1
	ds_load_b128 v[189:192], v196
	v_wmma_f32_16x16x16_bf16 v[57:64], v[101:104], v[177:180], v[57:64]
	ds_load_b128 v[185:188], v196 offset:4096
	v_wmma_f32_16x16x16_bf16 v[49:56], v[93:96], v[177:180], v[49:56]
	ds_load_b128 v[181:184], v196 offset:8192
	v_wmma_f32_16x16x16_bf16 v[41:48], v[101:104], v[169:172], v[41:48]
	ds_load_b128 v[117:120], v196 offset:12288
	v_wmma_f32_16x16x16_bf16 v[33:40], v[93:96], v[169:172], v[33:40]
	ds_load_b128 v[125:128], v197 offset:16384
	v_wmma_f32_16x16x16_bf16 v[25:32], v[101:104], v[109:112], v[25:32]
	ds_load_b128 v[121:124], v197 offset:24576
	v_wmma_f32_16x16x16_bf16 v[17:24], v[93:96], v[109:112], v[17:24]
	ds_load_b128 v[177:180], v201
	v_wmma_f32_16x16x16_bf16 v[9:16], v[101:104], v[89:92], v[9:16]
	ds_load_b128 v[169:172], v201 offset:4096
	v_wmma_f32_16x16x16_bf16 v[1:8], v[93:96], v[89:92], v[1:8]
	ds_load_b128 v[109:112], v201 offset:8192
	v_wmma_f32_16x16x16_bf16 v[57:64], v[81:84], v[173:176], v[57:64]
	ds_load_b128 v[89:92], v201 offset:12288
	v_wmma_f32_16x16x16_bf16 v[49:56], v[85:88], v[173:176], v[49:56]
	ds_load_b128 v[101:104], v202 offset:16384
	v_wmma_f32_16x16x16_bf16 v[41:48], v[81:84], v[161:164], v[41:48]
	ds_load_b128 v[93:96], v202 offset:24576
	v_wmma_f32_16x16x16_bf16 v[33:40], v[85:88], v[161:164], v[33:40]
	;; [unrolled: 12-line block ×3, first 2 shown]
	ds_load_b128 v[165:168], v205
	v_wmma_f32_16x16x16_bf16 v[41:48], v[69:72], v[113:116], v[41:48]
	v_wmma_f32_16x16x16_bf16 v[1:8], v[73:76], v[65:68], v[1:8]
	v_wmma_f32_16x16x16_bf16 v[9:16], v[69:72], v[65:68], v[9:16]
	ds_load_b128 v[65:68], v205 offset:12288
	v_wmma_f32_16x16x16_bf16 v[33:40], v[73:76], v[113:116], v[33:40]
	ds_load_b128 v[113:116], v205 offset:4096
	v_wmma_f32_16x16x16_bf16 v[17:24], v[73:76], v[97:100], v[17:24]
	v_wmma_f32_16x16x16_bf16 v[25:32], v[69:72], v[97:100], v[25:32]
	ds_load_b128 v[97:100], v205 offset:8192
	ds_load_b128 v[73:76], v206 offset:24576
	;; [unrolled: 1-line block ×3, first 2 shown]
	v_add_nc_u32_e32 v207, v207, v219
	; sched_group_barrier mask(0x00000200) size(1) SyncID(0)
	; sched_group_barrier mask(0x00000008) size(1) SyncID(0)
	;; [unrolled: 1-line block ×80, first 2 shown]
	; sched_barrier mask(0x00000000)
	v_add_nc_u32_e32 v215, 0x80, v215
	v_add_nc_u32_e32 v216, 0x80, v216
	;; [unrolled: 1-line block ×8, first 2 shown]
	s_add_co_i32 s6, s6, -1
	s_wait_alu 0xfffe
	s_cmp_lg_u32 s6, 0
	s_cbranch_scc1 .LBB3_12
; %bb.13:
	s_wait_dscnt 0x13
	v_wmma_f32_16x16x16_bf16 v[57:64], v[125:128], v[189:192], v[57:64]
	v_lshlrev_b32_e32 v0, 4, v0
	s_wait_loadcnt 0x6
	v_lshl_or_b32 v131, s15, 7, v195
	s_wait_loadcnt 0x2
	v_and_b32_e32 v133, 56, v193
	s_wait_dscnt 0x12
	v_wmma_f32_16x16x16_bf16 v[49:56], v[121:124], v[189:192], v[49:56]
	s_wait_dscnt 0xd
	v_wmma_f32_16x16x16_bf16 v[57:64], v[101:104], v[177:180], v[57:64]
	v_and_b32_e32 v129, 0x70, v0
	v_wmma_f32_16x16x16_bf16 v[41:48], v[125:128], v[185:188], v[41:48]
	v_lshlrev_b32_e32 v133, 1, v133
	s_wait_dscnt 0xc
	v_wmma_f32_16x16x16_bf16 v[49:56], v[93:96], v[177:180], v[49:56]
	s_wait_dscnt 0x8
	v_wmma_f32_16x16x16_bf16 v[57:64], v[81:84], v[173:176], v[57:64]
	v_or_b32_e32 v0, s14, v129
	v_lshl_or_b32 v134, v195, 7, v129
	v_wmma_f32_16x16x16_bf16 v[33:40], v[121:124], v[185:188], v[33:40]
	s_wait_dscnt 0x6
	v_wmma_f32_16x16x16_bf16 v[49:56], v[85:88], v[173:176], v[49:56]
	s_wait_dscnt 0x0
	v_wmma_f32_16x16x16_bf16 v[57:64], v[69:72], v[165:168], v[57:64]
	v_mad_co_u64_u32 v[129:130], null, v131, s13, v[0:1]
	v_wmma_f32_16x16x16_bf16 v[41:48], v[101:104], v[169:172], v[41:48]
	v_wmma_f32_16x16x16_bf16 v[49:56], v[73:76], v[165:168], v[49:56]
	s_delay_alu instid0(VALU_DEP_4)
	v_bfe_u32 v132, v57, 16, 1
	v_bfe_u32 v135, v58, 16, 1
	v_cmp_u_f32_e32 vcc_lo, v57, v57
	v_bfe_u32 v136, v59, 16, 1
	v_bfe_u32 v137, v60, 16, 1
	v_add3_u32 v130, v132, v57, 0x7fff
	v_or_b32_e32 v132, 0x400000, v57
	v_lshl_or_b32 v57, v194, 8, v133
	v_or_b32_e32 v133, 0x400000, v58
	v_bfe_u32 v138, v63, 16, 1
	v_bfe_u32 v139, v64, 16, 1
	v_cndmask_b32_e32 v130, v130, v132, vcc_lo
	v_add3_u32 v132, v135, v58, 0x7fff
	v_cmp_u_f32_e32 vcc_lo, v58, v58
	v_add3_u32 v135, v136, v59, 0x7fff
	v_or_b32_e32 v136, 0x400000, v59
	v_or_b32_e32 v140, 0x400000, v62
	v_wmma_f32_16x16x16_bf16 v[33:40], v[93:96], v[169:172], v[33:40]
	s_wait_alu 0xfffd
	v_cndmask_b32_e32 v58, v132, v133, vcc_lo
	v_bfe_u32 v132, v61, 16, 1
	v_cmp_u_f32_e32 vcc_lo, v59, v59
	v_add3_u32 v133, v137, v60, 0x7fff
	v_bfe_u32 v137, v62, 16, 1
	v_perm_b32 v58, v58, v130, 0x7060302
	v_add3_u32 v132, v132, v61, 0x7fff
	s_wait_alu 0xfffd
	v_cndmask_b32_e32 v59, v135, v136, vcc_lo
	v_or_b32_e32 v136, 0x400000, v61
	v_cmp_u_f32_e32 vcc_lo, v61, v61
	v_add3_u32 v61, v137, v62, 0x7fff
	v_or_b32_e32 v137, 0x400000, v63
	v_or_b32_e32 v135, 0x400000, v60
	s_lshl_b64 s[0:1], s[18:19], 1
	s_wait_alu 0xfffd
	v_cndmask_b32_e32 v132, v132, v136, vcc_lo
	v_add3_u32 v136, v138, v63, 0x7fff
	v_cmp_u_f32_e32 vcc_lo, v63, v63
	v_add3_u32 v138, v139, v64, 0x7fff
	v_or_b32_e32 v139, 0x400000, v64
	s_add_nc_u64 s[6:7], s[16:17], s[0:1]
	v_cmp_gt_i32_e64 s1, s4, v131
	s_wait_alu 0xfffd
	v_cndmask_b32_e32 v63, v136, v137, vcc_lo
	v_cmp_u_f32_e32 vcc_lo, v64, v64
	v_wmma_f32_16x16x16_bf16 v[25:32], v[125:128], v[181:184], v[25:32]
	v_wmma_f32_16x16x16_bf16 v[17:24], v[121:124], v[181:184], v[17:24]
	;; [unrolled: 1-line block ×4, first 2 shown]
	s_wait_alu 0xfffd
	v_cndmask_b32_e32 v64, v138, v139, vcc_lo
	v_cmp_u_f32_e32 vcc_lo, v62, v62
	s_wait_dscnt 0x0
	s_barrier_signal -1
	s_barrier_wait -1
	v_ashrrev_i32_e32 v130, 31, v129
	s_wait_alu 0xfffd
	v_cndmask_b32_e32 v62, v61, v140, vcc_lo
	v_cmp_u_f32_e32 vcc_lo, v60, v60
	v_perm_b32 v61, v64, v63, 0x7060302
	v_bfe_u32 v63, v55, 16, 1
	v_or_b32_e32 v64, 0x400000, v56
	v_perm_b32 v60, v62, v132, 0x7060302
	s_wait_alu 0xfffd
	v_cndmask_b32_e32 v133, v133, v135, vcc_lo
	v_bfe_u32 v135, v56, 16, 1
	v_cmp_u_f32_e32 vcc_lo, v56, v56
	v_add3_u32 v63, v63, v55, 0x7fff
	v_or_b32_e32 v132, 0x400000, v55
	v_perm_b32 v59, v133, v59, 0x7060302
	v_add3_u32 v62, v135, v56, 0x7fff
	v_bfe_u32 v133, v54, 16, 1
	v_or_b32_e32 v135, 0x400000, v49
	s_wait_alu 0xfffd
	s_delay_alu instid0(VALU_DEP_3)
	v_cndmask_b32_e32 v56, v62, v64, vcc_lo
	v_cmp_u_f32_e32 vcc_lo, v55, v55
	v_bfe_u32 v62, v53, 16, 1
	v_or_b32_e32 v64, 0x400000, v54
	s_wait_alu 0xfffd
	v_cndmask_b32_e32 v55, v63, v132, vcc_lo
	v_add3_u32 v63, v133, v54, 0x7fff
	v_cmp_u_f32_e32 vcc_lo, v54, v54
	v_bfe_u32 v132, v52, 16, 1
	v_add3_u32 v62, v62, v53, 0x7fff
	v_or_b32_e32 v133, 0x400000, v53
	s_wait_alu 0xfffd
	v_cndmask_b32_e32 v54, v63, v64, vcc_lo
	v_cmp_u_f32_e32 vcc_lo, v53, v53
	v_add3_u32 v63, v132, v52, 0x7fff
	v_or_b32_e32 v64, 0x400000, v52
	v_bfe_u32 v132, v50, 16, 1
	s_wait_alu 0xfffd
	v_cndmask_b32_e32 v53, v62, v133, vcc_lo
	v_bfe_u32 v62, v51, 16, 1
	v_cmp_u_f32_e32 vcc_lo, v52, v52
	v_bfe_u32 v52, v49, 16, 1
	v_add3_u32 v132, v132, v50, 0x7fff
	v_or_b32_e32 v133, 0x400000, v50
	v_add3_u32 v62, v62, v51, 0x7fff
	s_wait_alu 0xfffd
	v_cndmask_b32_e32 v63, v63, v64, vcc_lo
	v_or_b32_e32 v64, 0x400000, v51
	v_cmp_u_f32_e32 vcc_lo, v51, v51
	v_add3_u32 v52, v52, v49, 0x7fff
	v_perm_b32 v51, v54, v53, 0x7060302
	s_wait_alu 0xfffd
	v_cndmask_b32_e32 v62, v62, v64, vcc_lo
	v_cmp_u_f32_e32 vcc_lo, v50, v50
	s_delay_alu instid0(VALU_DEP_2)
	v_perm_b32 v50, v63, v62, 0x7060302
	s_wait_alu 0xfffd
	v_cndmask_b32_e32 v64, v132, v133, vcc_lo
	v_cmp_u_f32_e32 vcc_lo, v49, v49
	s_wait_alu 0xfffd
	v_cndmask_b32_e32 v49, v52, v135, vcc_lo
	v_perm_b32 v52, v56, v55, 0x7060302
	v_cmp_gt_i32_e32 vcc_lo, s5, v0
	s_delay_alu instid0(VALU_DEP_3)
	v_perm_b32 v49, v64, v49, 0x7060302
	ds_store_b128 v57, v[58:61]
	ds_store_b128 v57, v[49:52] offset:128
	v_lshlrev_b32_e32 v51, 1, v134
	s_and_b32 s0, s1, vcc_lo
	s_wait_dscnt 0x0
	s_barrier_signal -1
	s_barrier_wait -1
	s_and_saveexec_b32 s2, s0
	s_cbranch_execz .LBB3_15
; %bb.14:
	ds_load_b128 v[52:55], v51
	v_lshlrev_b64_e32 v[49:50], 1, v[129:130]
	s_wait_alu 0xfffe
	s_delay_alu instid0(VALU_DEP_1) | instskip(NEXT) | instid1(VALU_DEP_1)
	v_add_co_u32 v49, s0, s6, v49
	v_add_co_ci_u32_e64 v50, null, s7, v50, s0
	s_wait_dscnt 0x0
	s_clause 0x3
	global_atomic_pk_add_bf16 v[49:50], v52, off scope:SCOPE_DEV
	global_atomic_pk_add_bf16 v[49:50], v53, off offset:4 scope:SCOPE_DEV
	global_atomic_pk_add_bf16 v[49:50], v54, off offset:8 scope:SCOPE_DEV
	;; [unrolled: 1-line block ×3, first 2 shown]
.LBB3_15:
	s_or_b32 exec_lo, exec_lo, s2
	v_or_b32_e32 v0, 8, v0
	v_wmma_f32_16x16x16_bf16 v[25:32], v[101:104], v[109:112], v[25:32]
	v_wmma_f32_16x16x16_bf16 v[17:24], v[93:96], v[109:112], v[17:24]
	;; [unrolled: 1-line block ×4, first 2 shown]
	v_cmp_gt_i32_e64 s0, s5, v0
	s_and_b32 s1, s1, s0
	s_wait_alu 0xfffe
	s_and_saveexec_b32 s2, s1
	s_cbranch_execz .LBB3_17
; %bb.16:
	ds_load_b128 v[52:55], v51 offset:16
	v_lshlrev_b64_e32 v[49:50], 1, v[129:130]
	s_delay_alu instid0(VALU_DEP_1) | instskip(SKIP_1) | instid1(VALU_DEP_2)
	v_add_co_u32 v49, s1, s6, v49
	s_wait_alu 0xf1ff
	v_add_co_ci_u32_e64 v50, null, s7, v50, s1
	s_wait_dscnt 0x0
	s_clause 0x3
	global_atomic_pk_add_bf16 v[49:50], v52, off offset:16 scope:SCOPE_DEV
	global_atomic_pk_add_bf16 v[49:50], v53, off offset:20 scope:SCOPE_DEV
	;; [unrolled: 1-line block ×4, first 2 shown]
.LBB3_17:
	s_or_b32 exec_lo, exec_lo, s2
	v_bfe_u32 v0, v41, 16, 1
	v_or_b32_e32 v52, 0x400000, v41
	v_bfe_u32 v53, v42, 16, 1
	v_cmp_u_f32_e64 s1, v41, v41
	v_bfe_u32 v54, v43, 16, 1
	v_add3_u32 v0, v0, v41, 0x7fff
	v_bfe_u32 v55, v44, 16, 1
	v_add3_u32 v41, v53, v42, 0x7fff
	;; [unrolled: 2-line block ×3, first 2 shown]
	s_wait_alu 0xf1ff
	v_cndmask_b32_e64 v0, v0, v52, s1
	v_or_b32_e32 v52, 0x400000, v42
	v_cmp_u_f32_e64 s1, v42, v42
	v_or_b32_e32 v54, 0x400000, v43
	v_add3_u32 v42, v55, v44, 0x7fff
	v_bfe_u32 v55, v46, 16, 1
	v_bfe_u32 v58, v48, 16, 1
	s_wait_alu 0xf1ff
	v_cndmask_b32_e64 v52, v41, v52, s1
	v_bfe_u32 v41, v45, 16, 1
	v_cmp_u_f32_e64 s1, v43, v43
	v_or_b32_e32 v59, 0x400000, v46
	v_or_b32_e32 v43, 0x400000, v44
	s_lshl_b32 s3, s13, 5
	v_add3_u32 v41, v41, v45, 0x7fff
	v_cndmask_b32_e64 v53, v53, v54, s1
	v_or_b32_e32 v54, 0x400000, v45
	v_cmp_u_f32_e64 s1, v45, v45
	v_add3_u32 v45, v55, v46, 0x7fff
	v_or_b32_e32 v55, 0x400000, v47
	v_or_b32_e32 v50, 32, v131
	v_add_nc_u32_e32 v49, s3, v129
	s_wait_alu 0xf1ff
	v_cndmask_b32_e64 v41, v41, v54, s1
	v_add3_u32 v54, v56, v47, 0x7fff
	v_cmp_u_f32_e64 s1, v47, v47
	v_add3_u32 v56, v58, v48, 0x7fff
	v_or_b32_e32 v58, 0x400000, v48
	v_wmma_f32_16x16x16_bf16 v[9:16], v[125:128], v[117:120], v[9:16]
	v_wmma_f32_16x16x16_bf16 v[1:8], v[121:124], v[117:120], v[1:8]
	s_wait_alu 0xf1ff
	v_cndmask_b32_e64 v47, v54, v55, s1
	v_cmp_u_f32_e64 s1, v48, v48
	v_wmma_f32_16x16x16_bf16 v[25:32], v[81:84], v[105:108], v[25:32]
	v_wmma_f32_16x16x16_bf16 v[17:24], v[85:88], v[105:108], v[17:24]
	s_wait_dscnt 0x0
	s_barrier_signal -1
	s_wait_alu 0xf1ff
	v_cndmask_b32_e64 v48, v56, v58, s1
	v_cmp_u_f32_e64 s1, v46, v46
	v_bfe_u32 v46, v40, 16, 1
	s_barrier_wait -1
	s_wait_alu 0xf1ff
	s_delay_alu instid0(VALU_DEP_2) | instskip(SKIP_2) | instid1(VALU_DEP_1)
	v_cndmask_b32_e64 v45, v45, v59, s1
	v_cmp_u_f32_e64 s1, v44, v44
	s_wait_alu 0xf1ff
	v_cndmask_b32_e64 v44, v42, v43, s1
	v_perm_b32 v43, v48, v47, 0x7060302
	v_bfe_u32 v47, v39, 16, 1
	v_perm_b32 v42, v45, v41, 0x7060302
	v_or_b32_e32 v45, 0x400000, v40
	v_perm_b32 v41, v44, v53, 0x7060302
	v_add3_u32 v44, v46, v40, 0x7fff
	v_cmp_u_f32_e64 s1, v40, v40
	v_add3_u32 v46, v47, v39, 0x7fff
	v_or_b32_e32 v47, 0x400000, v39
	v_bfe_u32 v48, v38, 16, 1
	v_bfe_u32 v40, v37, 16, 1
	s_wait_alu 0xf1ff
	v_cndmask_b32_e64 v44, v44, v45, s1
	v_cmp_u_f32_e64 s1, v39, v39
	v_or_b32_e32 v53, 0x400000, v33
	v_add3_u32 v45, v48, v38, 0x7fff
	v_add3_u32 v40, v40, v37, 0x7fff
	v_or_b32_e32 v48, 0x400000, v37
	s_wait_alu 0xf1ff
	v_cndmask_b32_e64 v39, v46, v47, s1
	v_or_b32_e32 v46, 0x400000, v38
	v_cmp_u_f32_e64 s1, v38, v38
	v_bfe_u32 v47, v36, 16, 1
	s_wait_alu 0xf1ff
	s_delay_alu instid0(VALU_DEP_2) | instskip(SKIP_1) | instid1(VALU_DEP_3)
	v_cndmask_b32_e64 v38, v45, v46, s1
	v_cmp_u_f32_e64 s1, v37, v37
	v_add3_u32 v45, v47, v36, 0x7fff
	v_or_b32_e32 v46, 0x400000, v36
	v_bfe_u32 v47, v34, 16, 1
	s_wait_alu 0xf1ff
	v_cndmask_b32_e64 v37, v40, v48, s1
	v_bfe_u32 v40, v35, 16, 1
	v_cmp_u_f32_e64 s1, v36, v36
	v_bfe_u32 v36, v33, 16, 1
	v_add3_u32 v47, v47, v34, 0x7fff
	v_or_b32_e32 v48, 0x400000, v34
	v_add3_u32 v40, v40, v35, 0x7fff
	s_wait_alu 0xf1ff
	v_cndmask_b32_e64 v45, v45, v46, s1
	v_or_b32_e32 v46, 0x400000, v35
	v_cmp_u_f32_e64 s1, v35, v35
	v_add3_u32 v36, v36, v33, 0x7fff
	v_perm_b32 v35, v38, v37, 0x7060302
	s_wait_alu 0xf1ff
	s_delay_alu instid0(VALU_DEP_3) | instskip(SKIP_2) | instid1(VALU_DEP_3)
	v_cndmask_b32_e64 v46, v40, v46, s1
	v_cmp_u_f32_e64 s1, v34, v34
	v_perm_b32 v40, v52, v0, 0x7060302
	v_perm_b32 v34, v45, v46, 0x7060302
	s_wait_alu 0xf1ff
	s_delay_alu instid0(VALU_DEP_3) | instskip(SKIP_2) | instid1(VALU_DEP_1)
	v_cndmask_b32_e64 v47, v47, v48, s1
	v_cmp_u_f32_e64 s1, v33, v33
	s_wait_alu 0xf1ff
	v_cndmask_b32_e64 v33, v36, v53, s1
	v_cmp_gt_i32_e64 s1, s4, v50
	v_ashrrev_i32_e32 v50, 31, v49
	v_perm_b32 v36, v44, v39, 0x7060302
	s_delay_alu instid0(VALU_DEP_4)
	v_perm_b32 v33, v47, v33, 0x7060302
	s_and_b32 s2, vcc_lo, s1
	ds_store_b128 v57, v[40:43]
	ds_store_b128 v57, v[33:36] offset:128
	s_wait_dscnt 0x0
	s_barrier_signal -1
	s_barrier_wait -1
	s_wait_alu 0xfffe
	s_and_saveexec_b32 s5, s2
	s_cbranch_execz .LBB3_19
; %bb.18:
	ds_load_b128 v[33:36], v51
	v_lshlrev_b64_e32 v[37:38], 1, v[49:50]
	s_delay_alu instid0(VALU_DEP_1) | instskip(SKIP_1) | instid1(VALU_DEP_2)
	v_add_co_u32 v37, s2, s6, v37
	s_wait_alu 0xf1ff
	v_add_co_ci_u32_e64 v38, null, s7, v38, s2
	s_wait_dscnt 0x0
	s_clause 0x3
	global_atomic_pk_add_bf16 v[37:38], v33, off scope:SCOPE_DEV
	global_atomic_pk_add_bf16 v[37:38], v34, off offset:4 scope:SCOPE_DEV
	global_atomic_pk_add_bf16 v[37:38], v35, off offset:8 scope:SCOPE_DEV
	;; [unrolled: 1-line block ×3, first 2 shown]
.LBB3_19:
	s_wait_alu 0xfffe
	s_or_b32 exec_lo, exec_lo, s5
	v_wmma_f32_16x16x16_bf16 v[9:16], v[101:104], v[89:92], v[9:16]
	v_wmma_f32_16x16x16_bf16 v[1:8], v[93:96], v[89:92], v[1:8]
	;; [unrolled: 1-line block ×4, first 2 shown]
	s_and_b32 s1, s0, s1
	s_wait_alu 0xfffe
	s_and_saveexec_b32 s2, s1
	s_cbranch_execz .LBB3_21
; %bb.20:
	ds_load_b128 v[33:36], v51 offset:16
	v_lshlrev_b64_e32 v[37:38], 1, v[49:50]
	s_delay_alu instid0(VALU_DEP_1) | instskip(SKIP_1) | instid1(VALU_DEP_2)
	v_add_co_u32 v37, s1, s6, v37
	s_wait_alu 0xf1ff
	v_add_co_ci_u32_e64 v38, null, s7, v38, s1
	s_wait_dscnt 0x0
	s_clause 0x3
	global_atomic_pk_add_bf16 v[37:38], v33, off offset:16 scope:SCOPE_DEV
	global_atomic_pk_add_bf16 v[37:38], v34, off offset:20 scope:SCOPE_DEV
	;; [unrolled: 1-line block ×4, first 2 shown]
.LBB3_21:
	s_wait_alu 0xfffe
	s_or_b32 exec_lo, exec_lo, s2
	v_bfe_u32 v0, v25, 16, 1
	v_or_b32_e32 v35, 0x400000, v25
	v_bfe_u32 v36, v26, 16, 1
	v_cmp_u_f32_e64 s1, v25, v25
	v_bfe_u32 v37, v27, 16, 1
	v_add3_u32 v0, v0, v25, 0x7fff
	v_bfe_u32 v38, v28, 16, 1
	v_add3_u32 v25, v36, v26, 0x7fff
	;; [unrolled: 2-line block ×3, first 2 shown]
	s_wait_alu 0xf1ff
	v_cndmask_b32_e64 v0, v0, v35, s1
	v_or_b32_e32 v35, 0x400000, v26
	v_cmp_u_f32_e64 s1, v26, v26
	v_or_b32_e32 v37, 0x400000, v27
	v_add3_u32 v26, v38, v28, 0x7fff
	v_bfe_u32 v38, v30, 16, 1
	v_bfe_u32 v40, v32, 16, 1
	s_wait_alu 0xf1ff
	v_cndmask_b32_e64 v35, v25, v35, s1
	v_bfe_u32 v25, v29, 16, 1
	v_cmp_u_f32_e64 s1, v27, v27
	v_or_b32_e32 v41, 0x400000, v30
	v_or_b32_e32 v27, 0x400000, v28
	;; [unrolled: 1-line block ×3, first 2 shown]
	v_add3_u32 v25, v25, v29, 0x7fff
	s_wait_alu 0xf1ff
	v_cndmask_b32_e64 v36, v36, v37, s1
	v_or_b32_e32 v37, 0x400000, v29
	v_cmp_u_f32_e64 s1, v29, v29
	v_add3_u32 v29, v38, v30, 0x7fff
	v_or_b32_e32 v38, 0x400000, v31
	v_add_nc_u32_e32 v33, s3, v49
	v_wmma_f32_16x16x16_bf16 v[9:16], v[81:84], v[77:80], v[9:16]
	s_wait_alu 0xf1ff
	v_cndmask_b32_e64 v25, v25, v37, s1
	v_add3_u32 v37, v39, v31, 0x7fff
	v_cmp_u_f32_e64 s1, v31, v31
	v_add3_u32 v39, v40, v32, 0x7fff
	v_or_b32_e32 v40, 0x400000, v32
	v_wmma_f32_16x16x16_bf16 v[1:8], v[85:88], v[77:80], v[1:8]
	s_wait_dscnt 0x0
	s_wait_alu 0xf1ff
	v_cndmask_b32_e64 v31, v37, v38, s1
	v_cmp_u_f32_e64 s1, v32, v32
	s_barrier_signal -1
	s_barrier_wait -1
	s_wait_alu 0xf1ff
	s_delay_alu instid0(VALU_DEP_1) | instskip(SKIP_3) | instid1(VALU_DEP_2)
	v_cndmask_b32_e64 v32, v39, v40, s1
	v_cmp_u_f32_e64 s1, v30, v30
	v_bfe_u32 v30, v24, 16, 1
	s_wait_alu 0xf1ff
	v_cndmask_b32_e64 v29, v29, v41, s1
	v_cmp_u_f32_e64 s1, v28, v28
	s_wait_alu 0xf1ff
	s_delay_alu instid0(VALU_DEP_1)
	v_cndmask_b32_e64 v28, v26, v27, s1
	v_perm_b32 v27, v32, v31, 0x7060302
	v_bfe_u32 v31, v23, 16, 1
	v_perm_b32 v26, v29, v25, 0x7060302
	v_or_b32_e32 v29, 0x400000, v24
	v_perm_b32 v25, v28, v36, 0x7060302
	v_add3_u32 v28, v30, v24, 0x7fff
	v_cmp_u_f32_e64 s1, v24, v24
	v_add3_u32 v30, v31, v23, 0x7fff
	v_or_b32_e32 v31, 0x400000, v23
	v_bfe_u32 v32, v22, 16, 1
	v_bfe_u32 v24, v21, 16, 1
	s_wait_alu 0xf1ff
	v_cndmask_b32_e64 v28, v28, v29, s1
	v_cmp_u_f32_e64 s1, v23, v23
	v_or_b32_e32 v36, 0x400000, v17
	v_add3_u32 v29, v32, v22, 0x7fff
	v_add3_u32 v24, v24, v21, 0x7fff
	v_or_b32_e32 v32, 0x400000, v21
	s_wait_alu 0xf1ff
	v_cndmask_b32_e64 v23, v30, v31, s1
	v_or_b32_e32 v30, 0x400000, v22
	v_cmp_u_f32_e64 s1, v22, v22
	v_bfe_u32 v31, v20, 16, 1
	s_wait_alu 0xf1ff
	s_delay_alu instid0(VALU_DEP_2) | instskip(SKIP_1) | instid1(VALU_DEP_3)
	v_cndmask_b32_e64 v22, v29, v30, s1
	v_cmp_u_f32_e64 s1, v21, v21
	v_add3_u32 v29, v31, v20, 0x7fff
	v_or_b32_e32 v30, 0x400000, v20
	v_bfe_u32 v31, v18, 16, 1
	s_wait_alu 0xf1ff
	v_cndmask_b32_e64 v21, v24, v32, s1
	v_bfe_u32 v24, v19, 16, 1
	v_cmp_u_f32_e64 s1, v20, v20
	v_bfe_u32 v20, v17, 16, 1
	v_add3_u32 v31, v31, v18, 0x7fff
	v_or_b32_e32 v32, 0x400000, v18
	v_add3_u32 v24, v24, v19, 0x7fff
	s_wait_alu 0xf1ff
	v_cndmask_b32_e64 v29, v29, v30, s1
	v_or_b32_e32 v30, 0x400000, v19
	v_cmp_u_f32_e64 s1, v19, v19
	v_add3_u32 v20, v20, v17, 0x7fff
	v_perm_b32 v19, v22, v21, 0x7060302
	s_wait_alu 0xf1ff
	s_delay_alu instid0(VALU_DEP_3) | instskip(SKIP_2) | instid1(VALU_DEP_3)
	v_cndmask_b32_e64 v30, v24, v30, s1
	v_cmp_u_f32_e64 s1, v18, v18
	v_perm_b32 v24, v35, v0, 0x7060302
	v_perm_b32 v18, v29, v30, 0x7060302
	s_wait_alu 0xf1ff
	s_delay_alu instid0(VALU_DEP_3) | instskip(SKIP_2) | instid1(VALU_DEP_1)
	v_cndmask_b32_e64 v31, v31, v32, s1
	v_cmp_u_f32_e64 s1, v17, v17
	s_wait_alu 0xf1ff
	v_cndmask_b32_e64 v17, v20, v36, s1
	v_cmp_gt_i32_e64 s1, s4, v34
	v_ashrrev_i32_e32 v34, 31, v33
	v_perm_b32 v20, v28, v23, 0x7060302
	s_delay_alu instid0(VALU_DEP_4)
	v_perm_b32 v17, v31, v17, 0x7060302
	s_and_b32 s2, vcc_lo, s1
	ds_store_b128 v57, v[24:27]
	ds_store_b128 v57, v[17:20] offset:128
	s_wait_dscnt 0x0
	s_barrier_signal -1
	s_barrier_wait -1
	s_wait_alu 0xfffe
	s_and_saveexec_b32 s5, s2
	s_cbranch_execz .LBB3_23
; %bb.22:
	ds_load_b128 v[17:20], v51
	v_lshlrev_b64_e32 v[21:22], 1, v[33:34]
	s_delay_alu instid0(VALU_DEP_1) | instskip(SKIP_1) | instid1(VALU_DEP_2)
	v_add_co_u32 v21, s2, s6, v21
	s_wait_alu 0xf1ff
	v_add_co_ci_u32_e64 v22, null, s7, v22, s2
	s_wait_dscnt 0x0
	s_clause 0x3
	global_atomic_pk_add_bf16 v[21:22], v17, off scope:SCOPE_DEV
	global_atomic_pk_add_bf16 v[21:22], v18, off offset:4 scope:SCOPE_DEV
	global_atomic_pk_add_bf16 v[21:22], v19, off offset:8 scope:SCOPE_DEV
	;; [unrolled: 1-line block ×3, first 2 shown]
.LBB3_23:
	s_wait_alu 0xfffe
	s_or_b32 exec_lo, exec_lo, s5
	v_wmma_f32_16x16x16_bf16 v[9:16], v[69:72], v[65:68], v[9:16]
	v_wmma_f32_16x16x16_bf16 v[1:8], v[73:76], v[65:68], v[1:8]
	s_and_b32 s1, s0, s1
	s_wait_alu 0xfffe
	s_and_saveexec_b32 s2, s1
	s_cbranch_execz .LBB3_25
; %bb.24:
	ds_load_b128 v[17:20], v51 offset:16
	v_lshlrev_b64_e32 v[21:22], 1, v[33:34]
	s_delay_alu instid0(VALU_DEP_1) | instskip(SKIP_1) | instid1(VALU_DEP_2)
	v_add_co_u32 v21, s1, s6, v21
	s_wait_alu 0xf1ff
	v_add_co_ci_u32_e64 v22, null, s7, v22, s1
	s_wait_dscnt 0x0
	s_clause 0x3
	global_atomic_pk_add_bf16 v[21:22], v17, off offset:16 scope:SCOPE_DEV
	global_atomic_pk_add_bf16 v[21:22], v18, off offset:20 scope:SCOPE_DEV
	;; [unrolled: 1-line block ×4, first 2 shown]
.LBB3_25:
	s_wait_alu 0xfffe
	s_or_b32 exec_lo, exec_lo, s2
	v_bfe_u32 v17, v9, 16, 1
	v_bfe_u32 v19, v10, 16, 1
	v_or_b32_e32 v20, 0x400000, v9
	v_cmp_u_f32_e64 s1, v9, v9
	v_bfe_u32 v21, v11, 16, 1
	v_add3_u32 v17, v17, v9, 0x7fff
	v_add3_u32 v19, v19, v10, 0x7fff
	v_or_b32_e32 v9, 0x400000, v10
	v_bfe_u32 v22, v12, 16, 1
	v_bfe_u32 v23, v15, 16, 1
	s_wait_alu 0xf1ff
	v_cndmask_b32_e64 v17, v17, v20, s1
	v_cmp_u_f32_e64 s1, v10, v10
	v_add3_u32 v20, v21, v11, 0x7fff
	v_or_b32_e32 v21, 0x400000, v11
	v_add3_u32 v10, v22, v12, 0x7fff
	v_bfe_u32 v22, v14, 16, 1
	s_wait_alu 0xf1ff
	v_cndmask_b32_e64 v19, v19, v9, s1
	v_bfe_u32 v9, v13, 16, 1
	v_cmp_u_f32_e64 s1, v11, v11
	v_bfe_u32 v24, v16, 16, 1
	v_or_b32_e32 v25, 0x400000, v14
	v_or_b32_e32 v11, 0x400000, v12
	v_add3_u32 v9, v9, v13, 0x7fff
	s_wait_alu 0xf1ff
	v_cndmask_b32_e64 v20, v20, v21, s1
	v_or_b32_e32 v21, 0x400000, v13
	v_cmp_u_f32_e64 s1, v13, v13
	v_add3_u32 v13, v22, v14, 0x7fff
	v_or_b32_e32 v22, 0x400000, v15
	v_or_b32_e32 v18, 0x60, v131
	v_add_nc_u32_e32 v0, s3, v33
	s_wait_alu 0xf1ff
	v_cndmask_b32_e64 v9, v9, v21, s1
	v_add3_u32 v21, v23, v15, 0x7fff
	v_cmp_u_f32_e64 s1, v15, v15
	v_add3_u32 v23, v24, v16, 0x7fff
	v_or_b32_e32 v24, 0x400000, v16
	s_wait_dscnt 0x0
	s_barrier_signal -1
	s_wait_alu 0xf1ff
	v_cndmask_b32_e64 v15, v21, v22, s1
	v_cmp_u_f32_e64 s1, v16, v16
	s_barrier_wait -1
	s_wait_alu 0xf1ff
	s_delay_alu instid0(VALU_DEP_1) | instskip(SKIP_3) | instid1(VALU_DEP_2)
	v_cndmask_b32_e64 v16, v23, v24, s1
	v_cmp_u_f32_e64 s1, v14, v14
	v_bfe_u32 v14, v8, 16, 1
	s_wait_alu 0xf1ff
	v_cndmask_b32_e64 v13, v13, v25, s1
	v_cmp_u_f32_e64 s1, v12, v12
	s_wait_alu 0xf1ff
	s_delay_alu instid0(VALU_DEP_1)
	v_cndmask_b32_e64 v12, v10, v11, s1
	v_perm_b32 v11, v16, v15, 0x7060302
	v_bfe_u32 v15, v7, 16, 1
	v_perm_b32 v10, v13, v9, 0x7060302
	v_or_b32_e32 v13, 0x400000, v8
	v_perm_b32 v9, v12, v20, 0x7060302
	v_add3_u32 v12, v14, v8, 0x7fff
	v_cmp_u_f32_e64 s1, v8, v8
	v_add3_u32 v14, v15, v7, 0x7fff
	v_or_b32_e32 v15, 0x400000, v7
	v_bfe_u32 v16, v6, 16, 1
	v_bfe_u32 v8, v5, 16, 1
	s_wait_alu 0xf1ff
	v_cndmask_b32_e64 v12, v12, v13, s1
	v_cmp_u_f32_e64 s1, v7, v7
	v_or_b32_e32 v20, 0x400000, v1
	v_add3_u32 v13, v16, v6, 0x7fff
	v_add3_u32 v8, v8, v5, 0x7fff
	v_or_b32_e32 v16, 0x400000, v5
	s_wait_alu 0xf1ff
	v_cndmask_b32_e64 v7, v14, v15, s1
	v_or_b32_e32 v14, 0x400000, v6
	v_cmp_u_f32_e64 s1, v6, v6
	v_bfe_u32 v15, v4, 16, 1
	s_wait_alu 0xf1ff
	s_delay_alu instid0(VALU_DEP_2) | instskip(SKIP_1) | instid1(VALU_DEP_3)
	v_cndmask_b32_e64 v6, v13, v14, s1
	v_cmp_u_f32_e64 s1, v5, v5
	v_add3_u32 v13, v15, v4, 0x7fff
	v_or_b32_e32 v14, 0x400000, v4
	v_bfe_u32 v15, v2, 16, 1
	s_wait_alu 0xf1ff
	v_cndmask_b32_e64 v5, v8, v16, s1
	v_bfe_u32 v8, v3, 16, 1
	v_cmp_u_f32_e64 s1, v4, v4
	v_bfe_u32 v4, v1, 16, 1
	v_add3_u32 v15, v15, v2, 0x7fff
	v_or_b32_e32 v16, 0x400000, v2
	v_add3_u32 v8, v8, v3, 0x7fff
	s_wait_alu 0xf1ff
	v_cndmask_b32_e64 v13, v13, v14, s1
	v_or_b32_e32 v14, 0x400000, v3
	v_cmp_u_f32_e64 s1, v3, v3
	v_add3_u32 v4, v4, v1, 0x7fff
	v_perm_b32 v3, v6, v5, 0x7060302
	s_wait_alu 0xf1ff
	s_delay_alu instid0(VALU_DEP_3) | instskip(SKIP_2) | instid1(VALU_DEP_3)
	v_cndmask_b32_e64 v14, v8, v14, s1
	v_cmp_u_f32_e64 s1, v2, v2
	v_perm_b32 v8, v19, v17, 0x7060302
	v_perm_b32 v2, v13, v14, 0x7060302
	s_wait_alu 0xf1ff
	s_delay_alu instid0(VALU_DEP_3) | instskip(SKIP_2) | instid1(VALU_DEP_1)
	v_cndmask_b32_e64 v15, v15, v16, s1
	v_cmp_u_f32_e64 s1, v1, v1
	s_wait_alu 0xf1ff
	v_cndmask_b32_e64 v1, v4, v20, s1
	v_perm_b32 v4, v12, v7, 0x7060302
	v_cmp_gt_i32_e64 s1, s4, v18
	s_delay_alu instid0(VALU_DEP_3)
	v_perm_b32 v1, v15, v1, 0x7060302
	ds_store_b128 v57, v[8:11]
	ds_store_b128 v57, v[1:4] offset:128
	v_ashrrev_i32_e32 v1, 31, v0
	s_and_b32 s3, vcc_lo, s1
	s_wait_dscnt 0x0
	s_barrier_signal -1
	s_barrier_wait -1
	s_wait_alu 0xfffe
	s_and_saveexec_b32 s2, s3
	s_cbranch_execnz .LBB3_28
; %bb.26:
	s_wait_alu 0xfffe
	s_or_b32 exec_lo, exec_lo, s2
	s_and_b32 s0, s0, s1
	s_wait_alu 0xfffe
	s_and_saveexec_b32 s1, s0
	s_cbranch_execnz .LBB3_29
.LBB3_27:
	s_nop 0
	s_sendmsg sendmsg(MSG_DEALLOC_VGPRS)
	s_endpgm
.LBB3_28:
	ds_load_b128 v[2:5], v51
	v_lshlrev_b64_e32 v[6:7], 1, v[0:1]
	s_delay_alu instid0(VALU_DEP_1) | instskip(SKIP_1) | instid1(VALU_DEP_2)
	v_add_co_u32 v6, vcc_lo, s6, v6
	s_wait_alu 0xfffd
	v_add_co_ci_u32_e64 v7, null, s7, v7, vcc_lo
	s_wait_dscnt 0x0
	s_clause 0x3
	global_atomic_pk_add_bf16 v[6:7], v2, off scope:SCOPE_DEV
	global_atomic_pk_add_bf16 v[6:7], v3, off offset:4 scope:SCOPE_DEV
	global_atomic_pk_add_bf16 v[6:7], v4, off offset:8 scope:SCOPE_DEV
	;; [unrolled: 1-line block ×3, first 2 shown]
	s_wait_alu 0xfffe
	s_or_b32 exec_lo, exec_lo, s2
	s_and_b32 s0, s0, s1
	s_wait_alu 0xfffe
	s_and_saveexec_b32 s1, s0
	s_cbranch_execz .LBB3_27
.LBB3_29:
	ds_load_b128 v[2:5], v51 offset:16
	v_lshlrev_b64_e32 v[0:1], 1, v[0:1]
	s_delay_alu instid0(VALU_DEP_1) | instskip(SKIP_1) | instid1(VALU_DEP_2)
	v_add_co_u32 v0, vcc_lo, s6, v0
	s_wait_alu 0xfffd
	v_add_co_ci_u32_e64 v1, null, s7, v1, vcc_lo
	s_wait_dscnt 0x0
	s_clause 0x3
	global_atomic_pk_add_bf16 v[0:1], v2, off offset:16 scope:SCOPE_DEV
	global_atomic_pk_add_bf16 v[0:1], v3, off offset:20 scope:SCOPE_DEV
	;; [unrolled: 1-line block ×4, first 2 shown]
	s_nop 0
	s_sendmsg sendmsg(MSG_DEALLOC_VGPRS)
	s_endpgm
	.section	.rodata,"a",@progbits
	.p2align	6, 0x0
	.amdhsa_kernel _ZN2ck27kernel_gemm_xdl_cshuffle_v3INS_28GridwiseGemm_xdl_cshuffle_v3INS_13tensor_layout4gemm8RowMajorENS3_11ColumnMajorES4_DF16bDF16bfDF16bDF16bNS_16tensor_operation12element_wise11PassThroughES8_S8_LNS6_6device18GemmSpecializationE0ELi256ELi128ELi128ELi64ELi8ELi8ELi16ELi16ELi4ELi2ENS_8SequenceIJLi8ELi32ELi1EEEENSB_IJLi1ELi0ELi2EEEESD_Li2ELi8ELi8ELb0ELi0ESC_SD_SD_Li2ELi8ELi8ELb0ELi0ELi1ELi2ENSB_IJLi1ELi32ELi1ELi8EEEELi8ELNS_26BlockGemmPipelineSchedulerE0ELNS_24BlockGemmPipelineVersionE2EDF16bDF16bLb0ELb0ELb0ELi0ELb0EEELb1ELNS_25InMemoryDataOperationEnumE1ELi2ELNS_10TailNumberE10EEEvNT_8ArgumentE
		.amdhsa_group_segment_fixed_size 32768
		.amdhsa_private_segment_fixed_size 0
		.amdhsa_kernarg_size 112
		.amdhsa_user_sgpr_count 2
		.amdhsa_user_sgpr_dispatch_ptr 0
		.amdhsa_user_sgpr_queue_ptr 0
		.amdhsa_user_sgpr_kernarg_segment_ptr 1
		.amdhsa_user_sgpr_dispatch_id 0
		.amdhsa_user_sgpr_private_segment_size 0
		.amdhsa_wavefront_size32 1
		.amdhsa_uses_dynamic_stack 0
		.amdhsa_enable_private_segment 0
		.amdhsa_system_sgpr_workgroup_id_x 1
		.amdhsa_system_sgpr_workgroup_id_y 0
		.amdhsa_system_sgpr_workgroup_id_z 1
		.amdhsa_system_sgpr_workgroup_info 0
		.amdhsa_system_vgpr_workitem_id 0
		.amdhsa_next_free_vgpr 232
		.amdhsa_next_free_sgpr 29
		.amdhsa_reserve_vcc 1
		.amdhsa_float_round_mode_32 0
		.amdhsa_float_round_mode_16_64 0
		.amdhsa_float_denorm_mode_32 3
		.amdhsa_float_denorm_mode_16_64 3
		.amdhsa_fp16_overflow 0
		.amdhsa_workgroup_processor_mode 1
		.amdhsa_memory_ordered 1
		.amdhsa_forward_progress 1
		.amdhsa_inst_pref_size 65
		.amdhsa_round_robin_scheduling 0
		.amdhsa_exception_fp_ieee_invalid_op 0
		.amdhsa_exception_fp_denorm_src 0
		.amdhsa_exception_fp_ieee_div_zero 0
		.amdhsa_exception_fp_ieee_overflow 0
		.amdhsa_exception_fp_ieee_underflow 0
		.amdhsa_exception_fp_ieee_inexact 0
		.amdhsa_exception_int_div_zero 0
	.end_amdhsa_kernel
	.section	.text._ZN2ck27kernel_gemm_xdl_cshuffle_v3INS_28GridwiseGemm_xdl_cshuffle_v3INS_13tensor_layout4gemm8RowMajorENS3_11ColumnMajorES4_DF16bDF16bfDF16bDF16bNS_16tensor_operation12element_wise11PassThroughES8_S8_LNS6_6device18GemmSpecializationE0ELi256ELi128ELi128ELi64ELi8ELi8ELi16ELi16ELi4ELi2ENS_8SequenceIJLi8ELi32ELi1EEEENSB_IJLi1ELi0ELi2EEEESD_Li2ELi8ELi8ELb0ELi0ESC_SD_SD_Li2ELi8ELi8ELb0ELi0ELi1ELi2ENSB_IJLi1ELi32ELi1ELi8EEEELi8ELNS_26BlockGemmPipelineSchedulerE0ELNS_24BlockGemmPipelineVersionE2EDF16bDF16bLb0ELb0ELb0ELi0ELb0EEELb1ELNS_25InMemoryDataOperationEnumE1ELi2ELNS_10TailNumberE10EEEvNT_8ArgumentE,"axG",@progbits,_ZN2ck27kernel_gemm_xdl_cshuffle_v3INS_28GridwiseGemm_xdl_cshuffle_v3INS_13tensor_layout4gemm8RowMajorENS3_11ColumnMajorES4_DF16bDF16bfDF16bDF16bNS_16tensor_operation12element_wise11PassThroughES8_S8_LNS6_6device18GemmSpecializationE0ELi256ELi128ELi128ELi64ELi8ELi8ELi16ELi16ELi4ELi2ENS_8SequenceIJLi8ELi32ELi1EEEENSB_IJLi1ELi0ELi2EEEESD_Li2ELi8ELi8ELb0ELi0ESC_SD_SD_Li2ELi8ELi8ELb0ELi0ELi1ELi2ENSB_IJLi1ELi32ELi1ELi8EEEELi8ELNS_26BlockGemmPipelineSchedulerE0ELNS_24BlockGemmPipelineVersionE2EDF16bDF16bLb0ELb0ELb0ELi0ELb0EEELb1ELNS_25InMemoryDataOperationEnumE1ELi2ELNS_10TailNumberE10EEEvNT_8ArgumentE,comdat
.Lfunc_end3:
	.size	_ZN2ck27kernel_gemm_xdl_cshuffle_v3INS_28GridwiseGemm_xdl_cshuffle_v3INS_13tensor_layout4gemm8RowMajorENS3_11ColumnMajorES4_DF16bDF16bfDF16bDF16bNS_16tensor_operation12element_wise11PassThroughES8_S8_LNS6_6device18GemmSpecializationE0ELi256ELi128ELi128ELi64ELi8ELi8ELi16ELi16ELi4ELi2ENS_8SequenceIJLi8ELi32ELi1EEEENSB_IJLi1ELi0ELi2EEEESD_Li2ELi8ELi8ELb0ELi0ESC_SD_SD_Li2ELi8ELi8ELb0ELi0ELi1ELi2ENSB_IJLi1ELi32ELi1ELi8EEEELi8ELNS_26BlockGemmPipelineSchedulerE0ELNS_24BlockGemmPipelineVersionE2EDF16bDF16bLb0ELb0ELb0ELi0ELb0EEELb1ELNS_25InMemoryDataOperationEnumE1ELi2ELNS_10TailNumberE10EEEvNT_8ArgumentE, .Lfunc_end3-_ZN2ck27kernel_gemm_xdl_cshuffle_v3INS_28GridwiseGemm_xdl_cshuffle_v3INS_13tensor_layout4gemm8RowMajorENS3_11ColumnMajorES4_DF16bDF16bfDF16bDF16bNS_16tensor_operation12element_wise11PassThroughES8_S8_LNS6_6device18GemmSpecializationE0ELi256ELi128ELi128ELi64ELi8ELi8ELi16ELi16ELi4ELi2ENS_8SequenceIJLi8ELi32ELi1EEEENSB_IJLi1ELi0ELi2EEEESD_Li2ELi8ELi8ELb0ELi0ESC_SD_SD_Li2ELi8ELi8ELb0ELi0ELi1ELi2ENSB_IJLi1ELi32ELi1ELi8EEEELi8ELNS_26BlockGemmPipelineSchedulerE0ELNS_24BlockGemmPipelineVersionE2EDF16bDF16bLb0ELb0ELb0ELi0ELb0EEELb1ELNS_25InMemoryDataOperationEnumE1ELi2ELNS_10TailNumberE10EEEvNT_8ArgumentE
                                        ; -- End function
	.set _ZN2ck27kernel_gemm_xdl_cshuffle_v3INS_28GridwiseGemm_xdl_cshuffle_v3INS_13tensor_layout4gemm8RowMajorENS3_11ColumnMajorES4_DF16bDF16bfDF16bDF16bNS_16tensor_operation12element_wise11PassThroughES8_S8_LNS6_6device18GemmSpecializationE0ELi256ELi128ELi128ELi64ELi8ELi8ELi16ELi16ELi4ELi2ENS_8SequenceIJLi8ELi32ELi1EEEENSB_IJLi1ELi0ELi2EEEESD_Li2ELi8ELi8ELb0ELi0ESC_SD_SD_Li2ELi8ELi8ELb0ELi0ELi1ELi2ENSB_IJLi1ELi32ELi1ELi8EEEELi8ELNS_26BlockGemmPipelineSchedulerE0ELNS_24BlockGemmPipelineVersionE2EDF16bDF16bLb0ELb0ELb0ELi0ELb0EEELb1ELNS_25InMemoryDataOperationEnumE1ELi2ELNS_10TailNumberE10EEEvNT_8ArgumentE.num_vgpr, 232
	.set _ZN2ck27kernel_gemm_xdl_cshuffle_v3INS_28GridwiseGemm_xdl_cshuffle_v3INS_13tensor_layout4gemm8RowMajorENS3_11ColumnMajorES4_DF16bDF16bfDF16bDF16bNS_16tensor_operation12element_wise11PassThroughES8_S8_LNS6_6device18GemmSpecializationE0ELi256ELi128ELi128ELi64ELi8ELi8ELi16ELi16ELi4ELi2ENS_8SequenceIJLi8ELi32ELi1EEEENSB_IJLi1ELi0ELi2EEEESD_Li2ELi8ELi8ELb0ELi0ESC_SD_SD_Li2ELi8ELi8ELb0ELi0ELi1ELi2ENSB_IJLi1ELi32ELi1ELi8EEEELi8ELNS_26BlockGemmPipelineSchedulerE0ELNS_24BlockGemmPipelineVersionE2EDF16bDF16bLb0ELb0ELb0ELi0ELb0EEELb1ELNS_25InMemoryDataOperationEnumE1ELi2ELNS_10TailNumberE10EEEvNT_8ArgumentE.num_agpr, 0
	.set _ZN2ck27kernel_gemm_xdl_cshuffle_v3INS_28GridwiseGemm_xdl_cshuffle_v3INS_13tensor_layout4gemm8RowMajorENS3_11ColumnMajorES4_DF16bDF16bfDF16bDF16bNS_16tensor_operation12element_wise11PassThroughES8_S8_LNS6_6device18GemmSpecializationE0ELi256ELi128ELi128ELi64ELi8ELi8ELi16ELi16ELi4ELi2ENS_8SequenceIJLi8ELi32ELi1EEEENSB_IJLi1ELi0ELi2EEEESD_Li2ELi8ELi8ELb0ELi0ESC_SD_SD_Li2ELi8ELi8ELb0ELi0ELi1ELi2ENSB_IJLi1ELi32ELi1ELi8EEEELi8ELNS_26BlockGemmPipelineSchedulerE0ELNS_24BlockGemmPipelineVersionE2EDF16bDF16bLb0ELb0ELb0ELi0ELb0EEELb1ELNS_25InMemoryDataOperationEnumE1ELi2ELNS_10TailNumberE10EEEvNT_8ArgumentE.numbered_sgpr, 29
	.set _ZN2ck27kernel_gemm_xdl_cshuffle_v3INS_28GridwiseGemm_xdl_cshuffle_v3INS_13tensor_layout4gemm8RowMajorENS3_11ColumnMajorES4_DF16bDF16bfDF16bDF16bNS_16tensor_operation12element_wise11PassThroughES8_S8_LNS6_6device18GemmSpecializationE0ELi256ELi128ELi128ELi64ELi8ELi8ELi16ELi16ELi4ELi2ENS_8SequenceIJLi8ELi32ELi1EEEENSB_IJLi1ELi0ELi2EEEESD_Li2ELi8ELi8ELb0ELi0ESC_SD_SD_Li2ELi8ELi8ELb0ELi0ELi1ELi2ENSB_IJLi1ELi32ELi1ELi8EEEELi8ELNS_26BlockGemmPipelineSchedulerE0ELNS_24BlockGemmPipelineVersionE2EDF16bDF16bLb0ELb0ELb0ELi0ELb0EEELb1ELNS_25InMemoryDataOperationEnumE1ELi2ELNS_10TailNumberE10EEEvNT_8ArgumentE.num_named_barrier, 0
	.set _ZN2ck27kernel_gemm_xdl_cshuffle_v3INS_28GridwiseGemm_xdl_cshuffle_v3INS_13tensor_layout4gemm8RowMajorENS3_11ColumnMajorES4_DF16bDF16bfDF16bDF16bNS_16tensor_operation12element_wise11PassThroughES8_S8_LNS6_6device18GemmSpecializationE0ELi256ELi128ELi128ELi64ELi8ELi8ELi16ELi16ELi4ELi2ENS_8SequenceIJLi8ELi32ELi1EEEENSB_IJLi1ELi0ELi2EEEESD_Li2ELi8ELi8ELb0ELi0ESC_SD_SD_Li2ELi8ELi8ELb0ELi0ELi1ELi2ENSB_IJLi1ELi32ELi1ELi8EEEELi8ELNS_26BlockGemmPipelineSchedulerE0ELNS_24BlockGemmPipelineVersionE2EDF16bDF16bLb0ELb0ELb0ELi0ELb0EEELb1ELNS_25InMemoryDataOperationEnumE1ELi2ELNS_10TailNumberE10EEEvNT_8ArgumentE.private_seg_size, 0
	.set _ZN2ck27kernel_gemm_xdl_cshuffle_v3INS_28GridwiseGemm_xdl_cshuffle_v3INS_13tensor_layout4gemm8RowMajorENS3_11ColumnMajorES4_DF16bDF16bfDF16bDF16bNS_16tensor_operation12element_wise11PassThroughES8_S8_LNS6_6device18GemmSpecializationE0ELi256ELi128ELi128ELi64ELi8ELi8ELi16ELi16ELi4ELi2ENS_8SequenceIJLi8ELi32ELi1EEEENSB_IJLi1ELi0ELi2EEEESD_Li2ELi8ELi8ELb0ELi0ESC_SD_SD_Li2ELi8ELi8ELb0ELi0ELi1ELi2ENSB_IJLi1ELi32ELi1ELi8EEEELi8ELNS_26BlockGemmPipelineSchedulerE0ELNS_24BlockGemmPipelineVersionE2EDF16bDF16bLb0ELb0ELb0ELi0ELb0EEELb1ELNS_25InMemoryDataOperationEnumE1ELi2ELNS_10TailNumberE10EEEvNT_8ArgumentE.uses_vcc, 1
	.set _ZN2ck27kernel_gemm_xdl_cshuffle_v3INS_28GridwiseGemm_xdl_cshuffle_v3INS_13tensor_layout4gemm8RowMajorENS3_11ColumnMajorES4_DF16bDF16bfDF16bDF16bNS_16tensor_operation12element_wise11PassThroughES8_S8_LNS6_6device18GemmSpecializationE0ELi256ELi128ELi128ELi64ELi8ELi8ELi16ELi16ELi4ELi2ENS_8SequenceIJLi8ELi32ELi1EEEENSB_IJLi1ELi0ELi2EEEESD_Li2ELi8ELi8ELb0ELi0ESC_SD_SD_Li2ELi8ELi8ELb0ELi0ELi1ELi2ENSB_IJLi1ELi32ELi1ELi8EEEELi8ELNS_26BlockGemmPipelineSchedulerE0ELNS_24BlockGemmPipelineVersionE2EDF16bDF16bLb0ELb0ELb0ELi0ELb0EEELb1ELNS_25InMemoryDataOperationEnumE1ELi2ELNS_10TailNumberE10EEEvNT_8ArgumentE.uses_flat_scratch, 0
	.set _ZN2ck27kernel_gemm_xdl_cshuffle_v3INS_28GridwiseGemm_xdl_cshuffle_v3INS_13tensor_layout4gemm8RowMajorENS3_11ColumnMajorES4_DF16bDF16bfDF16bDF16bNS_16tensor_operation12element_wise11PassThroughES8_S8_LNS6_6device18GemmSpecializationE0ELi256ELi128ELi128ELi64ELi8ELi8ELi16ELi16ELi4ELi2ENS_8SequenceIJLi8ELi32ELi1EEEENSB_IJLi1ELi0ELi2EEEESD_Li2ELi8ELi8ELb0ELi0ESC_SD_SD_Li2ELi8ELi8ELb0ELi0ELi1ELi2ENSB_IJLi1ELi32ELi1ELi8EEEELi8ELNS_26BlockGemmPipelineSchedulerE0ELNS_24BlockGemmPipelineVersionE2EDF16bDF16bLb0ELb0ELb0ELi0ELb0EEELb1ELNS_25InMemoryDataOperationEnumE1ELi2ELNS_10TailNumberE10EEEvNT_8ArgumentE.has_dyn_sized_stack, 0
	.set _ZN2ck27kernel_gemm_xdl_cshuffle_v3INS_28GridwiseGemm_xdl_cshuffle_v3INS_13tensor_layout4gemm8RowMajorENS3_11ColumnMajorES4_DF16bDF16bfDF16bDF16bNS_16tensor_operation12element_wise11PassThroughES8_S8_LNS6_6device18GemmSpecializationE0ELi256ELi128ELi128ELi64ELi8ELi8ELi16ELi16ELi4ELi2ENS_8SequenceIJLi8ELi32ELi1EEEENSB_IJLi1ELi0ELi2EEEESD_Li2ELi8ELi8ELb0ELi0ESC_SD_SD_Li2ELi8ELi8ELb0ELi0ELi1ELi2ENSB_IJLi1ELi32ELi1ELi8EEEELi8ELNS_26BlockGemmPipelineSchedulerE0ELNS_24BlockGemmPipelineVersionE2EDF16bDF16bLb0ELb0ELb0ELi0ELb0EEELb1ELNS_25InMemoryDataOperationEnumE1ELi2ELNS_10TailNumberE10EEEvNT_8ArgumentE.has_recursion, 0
	.set _ZN2ck27kernel_gemm_xdl_cshuffle_v3INS_28GridwiseGemm_xdl_cshuffle_v3INS_13tensor_layout4gemm8RowMajorENS3_11ColumnMajorES4_DF16bDF16bfDF16bDF16bNS_16tensor_operation12element_wise11PassThroughES8_S8_LNS6_6device18GemmSpecializationE0ELi256ELi128ELi128ELi64ELi8ELi8ELi16ELi16ELi4ELi2ENS_8SequenceIJLi8ELi32ELi1EEEENSB_IJLi1ELi0ELi2EEEESD_Li2ELi8ELi8ELb0ELi0ESC_SD_SD_Li2ELi8ELi8ELb0ELi0ELi1ELi2ENSB_IJLi1ELi32ELi1ELi8EEEELi8ELNS_26BlockGemmPipelineSchedulerE0ELNS_24BlockGemmPipelineVersionE2EDF16bDF16bLb0ELb0ELb0ELi0ELb0EEELb1ELNS_25InMemoryDataOperationEnumE1ELi2ELNS_10TailNumberE10EEEvNT_8ArgumentE.has_indirect_call, 0
	.section	.AMDGPU.csdata,"",@progbits
; Kernel info:
; codeLenInByte = 8196
; TotalNumSgprs: 31
; NumVgprs: 232
; ScratchSize: 0
; MemoryBound: 0
; FloatMode: 240
; IeeeMode: 1
; LDSByteSize: 32768 bytes/workgroup (compile time only)
; SGPRBlocks: 0
; VGPRBlocks: 28
; NumSGPRsForWavesPerEU: 31
; NumVGPRsForWavesPerEU: 232
; Occupancy: 6
; WaveLimiterHint : 0
; COMPUTE_PGM_RSRC2:SCRATCH_EN: 0
; COMPUTE_PGM_RSRC2:USER_SGPR: 2
; COMPUTE_PGM_RSRC2:TRAP_HANDLER: 0
; COMPUTE_PGM_RSRC2:TGID_X_EN: 1
; COMPUTE_PGM_RSRC2:TGID_Y_EN: 0
; COMPUTE_PGM_RSRC2:TGID_Z_EN: 1
; COMPUTE_PGM_RSRC2:TIDIG_COMP_CNT: 0
	.section	.text._ZN2ck27kernel_gemm_xdl_cshuffle_v3INS_28GridwiseGemm_xdl_cshuffle_v3INS_13tensor_layout4gemm8RowMajorENS3_11ColumnMajorES4_DF16bDF16bfDF16bDF16bNS_16tensor_operation12element_wise11PassThroughES8_S8_LNS6_6device18GemmSpecializationE0ELi256ELi128ELi128ELi64ELi8ELi8ELi16ELi16ELi4ELi2ENS_8SequenceIJLi8ELi32ELi1EEEENSB_IJLi1ELi0ELi2EEEESD_Li2ELi8ELi8ELb0ELi0ESC_SD_SD_Li2ELi8ELi8ELb0ELi0ELi1ELi2ENSB_IJLi1ELi32ELi1ELi8EEEELi8ELNS_26BlockGemmPipelineSchedulerE0ELNS_24BlockGemmPipelineVersionE2EDF16bDF16bLb0ELb0ELb0ELi0ELb0EEELb1ELNS_25InMemoryDataOperationEnumE0ELi2ELNS_10TailNumberE10EEEvNT_8ArgumentE,"axG",@progbits,_ZN2ck27kernel_gemm_xdl_cshuffle_v3INS_28GridwiseGemm_xdl_cshuffle_v3INS_13tensor_layout4gemm8RowMajorENS3_11ColumnMajorES4_DF16bDF16bfDF16bDF16bNS_16tensor_operation12element_wise11PassThroughES8_S8_LNS6_6device18GemmSpecializationE0ELi256ELi128ELi128ELi64ELi8ELi8ELi16ELi16ELi4ELi2ENS_8SequenceIJLi8ELi32ELi1EEEENSB_IJLi1ELi0ELi2EEEESD_Li2ELi8ELi8ELb0ELi0ESC_SD_SD_Li2ELi8ELi8ELb0ELi0ELi1ELi2ENSB_IJLi1ELi32ELi1ELi8EEEELi8ELNS_26BlockGemmPipelineSchedulerE0ELNS_24BlockGemmPipelineVersionE2EDF16bDF16bLb0ELb0ELb0ELi0ELb0EEELb1ELNS_25InMemoryDataOperationEnumE0ELi2ELNS_10TailNumberE10EEEvNT_8ArgumentE,comdat
	.protected	_ZN2ck27kernel_gemm_xdl_cshuffle_v3INS_28GridwiseGemm_xdl_cshuffle_v3INS_13tensor_layout4gemm8RowMajorENS3_11ColumnMajorES4_DF16bDF16bfDF16bDF16bNS_16tensor_operation12element_wise11PassThroughES8_S8_LNS6_6device18GemmSpecializationE0ELi256ELi128ELi128ELi64ELi8ELi8ELi16ELi16ELi4ELi2ENS_8SequenceIJLi8ELi32ELi1EEEENSB_IJLi1ELi0ELi2EEEESD_Li2ELi8ELi8ELb0ELi0ESC_SD_SD_Li2ELi8ELi8ELb0ELi0ELi1ELi2ENSB_IJLi1ELi32ELi1ELi8EEEELi8ELNS_26BlockGemmPipelineSchedulerE0ELNS_24BlockGemmPipelineVersionE2EDF16bDF16bLb0ELb0ELb0ELi0ELb0EEELb1ELNS_25InMemoryDataOperationEnumE0ELi2ELNS_10TailNumberE10EEEvNT_8ArgumentE ; -- Begin function _ZN2ck27kernel_gemm_xdl_cshuffle_v3INS_28GridwiseGemm_xdl_cshuffle_v3INS_13tensor_layout4gemm8RowMajorENS3_11ColumnMajorES4_DF16bDF16bfDF16bDF16bNS_16tensor_operation12element_wise11PassThroughES8_S8_LNS6_6device18GemmSpecializationE0ELi256ELi128ELi128ELi64ELi8ELi8ELi16ELi16ELi4ELi2ENS_8SequenceIJLi8ELi32ELi1EEEENSB_IJLi1ELi0ELi2EEEESD_Li2ELi8ELi8ELb0ELi0ESC_SD_SD_Li2ELi8ELi8ELb0ELi0ELi1ELi2ENSB_IJLi1ELi32ELi1ELi8EEEELi8ELNS_26BlockGemmPipelineSchedulerE0ELNS_24BlockGemmPipelineVersionE2EDF16bDF16bLb0ELb0ELb0ELi0ELb0EEELb1ELNS_25InMemoryDataOperationEnumE0ELi2ELNS_10TailNumberE10EEEvNT_8ArgumentE
	.globl	_ZN2ck27kernel_gemm_xdl_cshuffle_v3INS_28GridwiseGemm_xdl_cshuffle_v3INS_13tensor_layout4gemm8RowMajorENS3_11ColumnMajorES4_DF16bDF16bfDF16bDF16bNS_16tensor_operation12element_wise11PassThroughES8_S8_LNS6_6device18GemmSpecializationE0ELi256ELi128ELi128ELi64ELi8ELi8ELi16ELi16ELi4ELi2ENS_8SequenceIJLi8ELi32ELi1EEEENSB_IJLi1ELi0ELi2EEEESD_Li2ELi8ELi8ELb0ELi0ESC_SD_SD_Li2ELi8ELi8ELb0ELi0ELi1ELi2ENSB_IJLi1ELi32ELi1ELi8EEEELi8ELNS_26BlockGemmPipelineSchedulerE0ELNS_24BlockGemmPipelineVersionE2EDF16bDF16bLb0ELb0ELb0ELi0ELb0EEELb1ELNS_25InMemoryDataOperationEnumE0ELi2ELNS_10TailNumberE10EEEvNT_8ArgumentE
	.p2align	8
	.type	_ZN2ck27kernel_gemm_xdl_cshuffle_v3INS_28GridwiseGemm_xdl_cshuffle_v3INS_13tensor_layout4gemm8RowMajorENS3_11ColumnMajorES4_DF16bDF16bfDF16bDF16bNS_16tensor_operation12element_wise11PassThroughES8_S8_LNS6_6device18GemmSpecializationE0ELi256ELi128ELi128ELi64ELi8ELi8ELi16ELi16ELi4ELi2ENS_8SequenceIJLi8ELi32ELi1EEEENSB_IJLi1ELi0ELi2EEEESD_Li2ELi8ELi8ELb0ELi0ESC_SD_SD_Li2ELi8ELi8ELb0ELi0ELi1ELi2ENSB_IJLi1ELi32ELi1ELi8EEEELi8ELNS_26BlockGemmPipelineSchedulerE0ELNS_24BlockGemmPipelineVersionE2EDF16bDF16bLb0ELb0ELb0ELi0ELb0EEELb1ELNS_25InMemoryDataOperationEnumE0ELi2ELNS_10TailNumberE10EEEvNT_8ArgumentE,@function
_ZN2ck27kernel_gemm_xdl_cshuffle_v3INS_28GridwiseGemm_xdl_cshuffle_v3INS_13tensor_layout4gemm8RowMajorENS3_11ColumnMajorES4_DF16bDF16bfDF16bDF16bNS_16tensor_operation12element_wise11PassThroughES8_S8_LNS6_6device18GemmSpecializationE0ELi256ELi128ELi128ELi64ELi8ELi8ELi16ELi16ELi4ELi2ENS_8SequenceIJLi8ELi32ELi1EEEENSB_IJLi1ELi0ELi2EEEESD_Li2ELi8ELi8ELb0ELi0ESC_SD_SD_Li2ELi8ELi8ELb0ELi0ELi1ELi2ENSB_IJLi1ELi32ELi1ELi8EEEELi8ELNS_26BlockGemmPipelineSchedulerE0ELNS_24BlockGemmPipelineVersionE2EDF16bDF16bLb0ELb0ELb0ELi0ELb0EEELb1ELNS_25InMemoryDataOperationEnumE0ELi2ELNS_10TailNumberE10EEEvNT_8ArgumentE: ; @_ZN2ck27kernel_gemm_xdl_cshuffle_v3INS_28GridwiseGemm_xdl_cshuffle_v3INS_13tensor_layout4gemm8RowMajorENS3_11ColumnMajorES4_DF16bDF16bfDF16bDF16bNS_16tensor_operation12element_wise11PassThroughES8_S8_LNS6_6device18GemmSpecializationE0ELi256ELi128ELi128ELi64ELi8ELi8ELi16ELi16ELi4ELi2ENS_8SequenceIJLi8ELi32ELi1EEEENSB_IJLi1ELi0ELi2EEEESD_Li2ELi8ELi8ELb0ELi0ESC_SD_SD_Li2ELi8ELi8ELb0ELi0ELi1ELi2ENSB_IJLi1ELi32ELi1ELi8EEEELi8ELNS_26BlockGemmPipelineSchedulerE0ELNS_24BlockGemmPipelineVersionE2EDF16bDF16bLb0ELb0ELb0ELi0ELb0EEELb1ELNS_25InMemoryDataOperationEnumE0ELi2ELNS_10TailNumberE10EEEvNT_8ArgumentE
; %bb.0:
	s_clause 0x4
	s_load_b96 s[12:14], s[0:1], 0x20
	s_load_b96 s[16:18], s[0:1], 0x60
	s_load_b128 s[4:7], s[0:1], 0x10
	s_load_b32 s2, s[0:1], 0x3c
	s_load_b128 s[8:11], s[0:1], 0x50
	s_lshr_b32 s3, ttmp7, 16
	s_mov_b32 s23, ttmp9
	s_wait_kmcnt 0x0
	s_cmp_gt_i32 s14, 1
	s_cselect_b32 s15, -1, 0
	s_bitcmp1_b32 s18, 0
	s_cselect_b32 s18, -1, 0
	s_delay_alu instid0(SALU_CYCLE_1)
	s_and_b32 s15, s15, s18
	s_mov_b64 s[18:19], 0
	s_and_not1_b32 vcc_lo, exec_lo, s15
	s_cbranch_vccnz .LBB4_2
; %bb.1:
	s_mul_i32 s15, s4, s3
	s_delay_alu instid0(SALU_CYCLE_1) | instskip(NEXT) | instid1(SALU_CYCLE_1)
	s_mul_i32 s18, s15, s5
	s_ashr_i32 s19, s18, 31
.LBB4_2:
	s_load_b32 s22, s[0:1], 0x34
	s_add_co_i32 s21, s4, -1
	s_mov_b32 s20, 0
	s_cmp_lt_u32 s21, 0x80
	s_cbranch_scc1 .LBB4_6
; %bb.3:
	s_add_co_i32 s0, s5, -1
	s_delay_alu instid0(SALU_CYCLE_1)
	s_cmp_lt_u32 s0, 0x80
	s_mov_b32 s0, 0
	s_cbranch_scc1 .LBB4_10
; %bb.4:
	s_add_co_i32 s0, s4, 0x7f
	s_add_co_i32 s1, s5, 0x7f
	s_ashr_i32 s15, s0, 31
	s_ashr_i32 s24, s1, 31
	s_lshr_b32 s15, s15, 25
	s_lshr_b32 s24, s24, 25
	s_add_co_i32 s0, s0, s15
	s_add_co_i32 s15, s1, s24
	s_ashr_i32 s1, s0, 7
	s_ashr_i32 s0, s15, 7
	;; [unrolled: 1-line block ×3, first 2 shown]
	s_mul_i32 s15, s0, s1
	s_delay_alu instid0(SALU_CYCLE_1) | instskip(NEXT) | instid1(SALU_CYCLE_1)
	s_add_co_i32 s24, s15, 7
	s_ashr_i32 s25, s24, 31
	s_delay_alu instid0(SALU_CYCLE_1) | instskip(NEXT) | instid1(SALU_CYCLE_1)
	s_lshr_b32 s25, s25, 29
	s_add_co_i32 s25, s24, s25
	s_lshr_b32 s24, s26, 29
	s_and_b32 s27, s25, -8
	s_add_co_i32 s26, s23, s24
	s_sub_co_i32 s24, s15, s27
	s_and_b32 s15, s26, -8
	s_add_co_i32 s24, s24, 8
	s_sub_co_i32 s23, s23, s15
	s_ashr_i32 s25, s25, 3
	s_cmp_gt_i32 s23, s24
	s_cbranch_scc1 .LBB4_7
; %bb.5:
	s_mul_i32 s15, s25, s23
	s_ashr_i32 s26, s26, 3
	s_cbranch_execz .LBB4_8
	s_branch .LBB4_9
.LBB4_6:
	s_mov_b32 s15, s20
	s_branch .LBB4_11
.LBB4_7:
                                        ; implicit-def: $sgpr15
	s_ashr_i32 s26, s26, 3
.LBB4_8:
	s_add_co_i32 s15, s25, -1
	s_delay_alu instid0(SALU_CYCLE_1) | instskip(NEXT) | instid1(SALU_CYCLE_1)
	s_mul_i32 s15, s15, s23
	s_add_co_i32 s15, s24, s15
.LBB4_9:
	s_abs_i32 s23, s0
	s_add_co_i32 s15, s15, s26
	s_cvt_f32_u32 s24, s23
	s_sub_co_i32 s25, 0, s23
	s_abs_i32 s26, s15
	s_delay_alu instid0(SALU_CYCLE_1) | instskip(NEXT) | instid1(TRANS32_DEP_1)
	v_rcp_iflag_f32_e32 v1, s24
	v_readfirstlane_b32 s24, v1
	s_mul_f32 s24, s24, 0x4f7ffffe
	s_wait_alu 0xfffe
	s_delay_alu instid0(SALU_CYCLE_2) | instskip(SKIP_1) | instid1(SALU_CYCLE_2)
	s_cvt_u32_f32 s24, s24
	s_wait_alu 0xfffe
	s_mul_i32 s25, s25, s24
	s_wait_alu 0xfffe
	s_mul_hi_u32 s25, s24, s25
	s_wait_alu 0xfffe
	s_add_co_i32 s24, s24, s25
	s_xor_b32 s25, s15, s0
	s_wait_alu 0xfffe
	s_mul_hi_u32 s24, s26, s24
	s_ashr_i32 s25, s25, 31
	s_wait_alu 0xfffe
	s_mul_i32 s27, s24, s23
	s_delay_alu instid0(SALU_CYCLE_1)
	s_sub_co_i32 s26, s26, s27
	s_add_co_i32 s27, s24, 1
	s_sub_co_i32 s28, s26, s23
	s_cmp_ge_u32 s26, s23
	s_cselect_b32 s24, s27, s24
	s_cselect_b32 s26, s28, s26
	s_wait_alu 0xfffe
	s_add_co_i32 s27, s24, 1
	s_cmp_ge_u32 s26, s23
	s_cselect_b32 s23, s27, s24
	s_lshr_b32 s24, s1, 30
	s_xor_b32 s23, s23, s25
	s_wait_alu 0xfffe
	s_add_co_i32 s24, s1, s24
	s_sub_co_i32 s23, s23, s25
	s_wait_alu 0xfffe
	s_and_b32 s24, s24, -4
	s_mul_i32 s25, s23, s0
	s_wait_alu 0xfffe
	s_sub_co_i32 s1, s1, s24
	s_sub_co_i32 s15, s15, s25
	s_cmp_ge_i32 s23, s24
	s_cselect_b32 s1, s1, 4
	s_ashr_i32 s26, s23, 31
	s_abs_i32 s24, s1
	s_lshr_b32 s26, s26, 30
	s_wait_alu 0xfffe
	s_cvt_f32_u32 s25, s24
	s_add_co_i32 s26, s23, s26
	s_sub_co_i32 s27, 0, s24
	s_and_b32 s26, s26, -4
	s_wait_alu 0xfffe
	v_rcp_iflag_f32_e32 v1, s25
	s_sub_co_i32 s26, s23, s26
	s_delay_alu instid0(SALU_CYCLE_1) | instskip(NEXT) | instid1(SALU_CYCLE_1)
	s_mul_i32 s0, s26, s0
	s_add_co_i32 s15, s0, s15
	s_delay_alu instid0(TRANS32_DEP_1) | instskip(SKIP_2) | instid1(SALU_CYCLE_2)
	v_readfirstlane_b32 s25, v1
	s_mul_f32 s25, s25, 0x4f7ffffe
	s_wait_alu 0xfffe
	s_cvt_u32_f32 s25, s25
	s_wait_alu 0xfffe
	s_delay_alu instid0(SALU_CYCLE_2) | instskip(NEXT) | instid1(SALU_CYCLE_1)
	s_mul_i32 s27, s27, s25
	s_mul_hi_u32 s0, s25, s27
	s_abs_i32 s27, s15
	s_add_co_i32 s25, s25, s0
	s_wait_alu 0xfffe
	s_mul_hi_u32 s0, s27, s25
	s_xor_b32 s25, s15, s1
	s_mul_i32 s28, s0, s24
	s_wait_alu 0xfffe
	s_ashr_i32 s25, s25, 31
	s_sub_co_i32 s27, s27, s28
	s_add_co_i32 s28, s0, 1
	s_sub_co_i32 s29, s27, s24
	s_cmp_ge_u32 s27, s24
	s_cselect_b32 s0, s28, s0
	s_cselect_b32 s27, s29, s27
	s_add_co_i32 s28, s0, 1
	s_cmp_ge_u32 s27, s24
	s_cselect_b32 s0, s28, s0
	s_wait_alu 0xfffe
	s_xor_b32 s0, s0, s25
	s_delay_alu instid0(SALU_CYCLE_1) | instskip(NEXT) | instid1(SALU_CYCLE_1)
	s_sub_co_i32 s0, s0, s25
	s_mul_i32 s1, s0, s1
	s_delay_alu instid0(SALU_CYCLE_1) | instskip(NEXT) | instid1(SALU_CYCLE_1)
	s_sub_co_i32 s1, s15, s1
	s_add_co_i32 s1, s1, s23
	s_delay_alu instid0(SALU_CYCLE_1)
	s_sub_co_i32 s23, s1, s26
.LBB4_10:
	s_delay_alu instid0(SALU_CYCLE_1)
	s_mov_b32 s15, s23
	s_mov_b32 s23, s0
.LBB4_11:
	s_wait_kmcnt 0x0
	s_mul_i32 s0, s22, s3
	s_mov_b32 s24, s7
	s_ashr_i32 s1, s0, 31
	s_mov_b32 s25, s20
	s_lshl_b64 s[26:27], s[0:1], 1
	v_lshrrev_b32_e32 v194, 1, v0
	s_add_nc_u64 s[0:1], s[8:9], s[26:27]
	s_add_nc_u64 s[8:9], s[10:11], s[26:27]
	s_wait_alu 0xfffe
	s_mul_u64 s[10:11], s[20:21], s[24:25]
	s_add_co_i32 s10, s14, -1
	s_add_co_i32 s27, s5, 0x7fffffff
	s_mul_i32 s14, s10, s22
	v_and_b32_e32 v1, 0x7c, v194
	s_sub_co_i32 s6, s6, s14
	s_cmp_lt_u32 s3, s10
	v_and_b32_e32 v3, 7, v0
	s_cselect_b32 s10, s22, s6
	s_lshl_b32 s6, s23, 7
	v_lshl_or_b32 v2, s15, 7, v1
	v_or_b32_e32 v38, s6, v1
	v_and_b32_e32 v37, 4, v194
	v_lshrrev_b32_e32 v6, 2, v0
	v_lshlrev_b32_e32 v5, 3, v3
	v_mul_lo_u32 v39, v2, s7
	v_mul_lo_u32 v40, v38, s12
	v_xor_b32_e32 v4, v37, v3
	v_lshlrev_b32_e32 v1, 6, v1
	v_and_b32_e32 v7, 15, v0
	v_lshrrev_b32_e32 v193, 3, v0
	v_and_b32_e32 v41, 4, v6
	s_ashr_i32 s3, s2, 31
	v_add_nc_u32_e32 v8, v39, v5
	v_lshl_or_b32 v1, v4, 3, v1
	v_add_nc_u32_e32 v13, v40, v5
	v_and_or_b32 v195, v193, 16, v7
	v_xor_b32_e32 v42, v41, v3
	v_and_or_b32 v43, v194, 48, v7
	s_lshr_b32 s3, s3, 29
	s_mov_b32 s24, s12
	s_mov_b32 s26, s20
	s_add_co_i32 s2, s2, s3
	s_wait_alu 0xfffe
	s_mul_u64 s[22:23], s[26:27], s[24:25]
	s_ashr_i32 s22, s2, 3
	; sched_barrier mask(0x00000000)
	v_add_nc_u32_e32 v5, s7, v8
	v_add_nc_u32_e32 v15, s12, v13
	v_lshlrev_b32_e32 v6, 1, v8
	s_add_co_i32 s2, s10, s11
	s_add_co_i32 s10, s10, s23
	v_add_nc_u32_e32 v14, s7, v5
	v_add_nc_u32_e32 v16, s12, v15
	v_lshlrev_b32_e32 v9, 1, v5
	v_lshlrev_b32_e32 v21, 1, v13
	s_mov_b32 s3, 0x31004000
	v_add_nc_u32_e32 v44, s7, v14
	v_add_nc_u32_e32 v45, s12, v16
	v_lshlrev_b32_e32 v14, 1, v14
	s_and_b32 s1, s1, 0xffff
	s_lshl_b32 s2, s2, 1
	v_lshlrev_b32_e32 v17, 1, v44
	s_lshl_b32 s14, s10, 1
	v_lshlrev_b32_e32 v25, 1, v15
	v_lshlrev_b32_e32 v29, 1, v16
	;; [unrolled: 1-line block ×3, first 2 shown]
	s_clause 0x1
	buffer_load_b128 v[5:8], v6, s[0:3], null offen
	buffer_load_b128 v[9:12], v9, s[0:3], null offen
	s_and_b32 s9, s9, 0xffff
	s_mov_b32 s10, s14
	s_mov_b32 s11, s3
	s_clause 0x1
	buffer_load_b128 v[13:16], v14, s[0:3], null offen
	buffer_load_b128 v[17:20], v17, s[0:3], null offen
	s_clause 0x3
	buffer_load_b128 v[21:24], v21, s[8:11], null offen
	buffer_load_b128 v[25:28], v25, s[8:11], null offen
	;; [unrolled: 1-line block ×4, first 2 shown]
	s_mul_i32 s23, s7, -3
	s_mul_i32 s24, s12, -3
	v_add3_u32 v44, s23, 64, v44
	s_wait_alu 0xfffe
	v_add3_u32 v45, s24, 64, v45
	s_delay_alu instid0(VALU_DEP_2) | instskip(NEXT) | instid1(VALU_DEP_2)
	v_add_nc_u32_e32 v46, s7, v44
	v_add_nc_u32_e32 v47, s12, v45
	v_lshlrev_b32_e32 v44, 1, v44
	v_lshlrev_b32_e32 v45, 1, v45
	s_delay_alu instid0(VALU_DEP_4)
	v_lshlrev_b32_e32 v48, 1, v46
	v_add_nc_u32_e32 v46, s7, v46
	v_lshlrev_b32_e32 v49, 1, v47
	v_add_nc_u32_e32 v47, s12, v47
	s_clause 0x1
	buffer_load_b128 v[141:144], v44, s[0:3], null offen
	buffer_load_b128 v[133:136], v48, s[0:3], null offen
	v_lshlrev_b32_e32 v44, 1, v46
	v_add_lshl_u32 v46, v46, s7, 1
	v_lshlrev_b32_e32 v48, 1, v47
	v_add_lshl_u32 v47, v47, s12, 1
	s_clause 0x1
	buffer_load_b128 v[149:152], v45, s[8:11], null offen
	buffer_load_b128 v[137:140], v49, s[8:11], null offen
	s_clause 0x1
	buffer_load_b128 v[157:160], v44, s[0:3], null offen
	buffer_load_b128 v[145:148], v46, s[0:3], null offen
	s_clause 0x1
	buffer_load_b128 v[161:164], v48, s[8:11], null offen
	buffer_load_b128 v[153:156], v47, s[8:11], null offen
	v_or_b32_e32 v45, 1, v37
	v_or_b32_e32 v46, 2, v37
	;; [unrolled: 1-line block ×3, first 2 shown]
	v_lshlrev_b32_e32 v47, 4, v42
	v_or_b32_e32 v48, 1, v41
	v_or_b32_e32 v49, 2, v41
	;; [unrolled: 1-line block ×3, first 2 shown]
	v_xor_b32_e32 v45, v45, v3
	v_xor_b32_e32 v46, v46, v3
	v_lshlrev_b32_e32 v44, 1, v1
	v_xor_b32_e32 v37, v37, v3
	v_lshl_or_b32 v196, v195, 7, v47
	v_lshl_or_b32 v197, v43, 7, v47
	v_xor_b32_e32 v43, v48, v3
	v_xor_b32_e32 v47, v49, v3
	;; [unrolled: 1-line block ×3, first 2 shown]
	v_sub_nc_u32_e32 v48, v45, v4
	v_sub_nc_u32_e32 v45, v46, v45
	;; [unrolled: 1-line block ×6, first 2 shown]
	v_lshl_add_u32 v42, v48, 4, v44
	v_lshlrev_b32_e32 v199, 3, v45
	v_lshlrev_b32_e32 v45, 4, v45
	;; [unrolled: 1-line block ×6, first 2 shown]
	v_add3_u32 v45, 0x80, v42, v45
	v_lshlrev_b32_e32 v41, 4, v41
	v_add_nc_u32_e32 v200, 64, v199
	v_add_nc_u32_e32 v201, v196, v43
	;; [unrolled: 1-line block ×3, first 2 shown]
	v_add3_u32 v43, 0x80, v45, v48
	v_add_nc_u32_e32 v203, v196, v47
	v_add_nc_u32_e32 v204, v197, v47
	v_add_nc_u32_e32 v205, v196, v41
	v_add_nc_u32_e32 v206, v197, v41
	s_wait_loadcnt 0xf
	ds_store_b128 v44, v[5:8]
	s_wait_loadcnt 0xe
	ds_store_b128 v42, v[9:12] offset:128
	s_wait_loadcnt 0xd
	ds_store_b128 v45, v[13:16] offset:128
	;; [unrolled: 2-line block ×7, first 2 shown]
	s_wait_dscnt 0x0
	s_barrier_signal -1
	s_barrier_wait -1
	ds_load_b128 v[189:192], v196
	ds_load_b128 v[185:188], v196 offset:4096
	ds_load_b128 v[181:184], v196 offset:8192
	ds_load_b128 v[113:116], v196 offset:12288
	ds_load_b128 v[121:124], v197 offset:16384
	ds_load_b128 v[117:120], v197 offset:24576
	ds_load_b128 v[177:180], v201
	ds_load_b128 v[173:176], v201 offset:4096
	ds_load_b128 v[109:112], v201 offset:8192
	ds_load_b128 v[81:84], v201 offset:12288
	ds_load_b128 v[97:100], v202 offset:16384
	ds_load_b128 v[93:96], v202 offset:24576
	;; [unrolled: 6-line block ×4, first 2 shown]
	v_lshlrev_b32_e32 v5, 3, v49
	v_add_nc_u32_e32 v7, v198, v200
	v_sub_nc_u32_e32 v6, v4, v37
	s_delay_alu instid0(VALU_DEP_2) | instskip(NEXT) | instid1(VALU_DEP_2)
	v_add3_u32 v1, v7, v1, v5
	v_lshlrev_b32_e32 v5, 3, v6
	s_delay_alu instid0(VALU_DEP_1)
	v_add3_u32 v207, v1, v5, 0xffffffc0
	; sched_barrier mask(0x00000000)
	v_or_b32_e32 v1, 3, v194
	v_lshlrev_b32_e32 v208, 4, v3
	v_or_b32_e32 v3, 3, v38
	v_or_b32_e32 v8, 3, v2
	;; [unrolled: 1-line block ×3, first 2 shown]
	v_xor_b32_e32 v1, v1, v0
	v_or_b32_e32 v5, 2, v38
	v_mul_lo_u32 v11, s12, v3
	v_mul_lo_u32 v8, s7, v8
	;; [unrolled: 1-line block ×3, first 2 shown]
	v_and_b32_e32 v9, 7, v1
	v_dual_mov_b32 v1, 0 :: v_dual_add_nc_u32 v6, s12, v40
	v_mul_lo_u32 v12, s12, v5
	v_add_nc_u32_e32 v10, s7, v39
	v_lshl_add_u32 v209, v40, 1, 0x100
	s_delay_alu instid0(VALU_DEP_4) | instskip(SKIP_4) | instid1(VALU_DEP_4)
	v_mov_b32_e32 v2, v1
	v_sub_nc_u32_e32 v3, v9, v46
	v_sub_nc_u32_e32 v9, v4, v9
	v_mov_b32_e32 v4, v1
	v_lshl_add_u32 v210, v39, 1, 0x100
	v_dual_mov_b32 v5, v1 :: v_dual_lshlrev_b32 v212, 3, v3
	v_mov_b32_e32 v3, v1
	v_lshl_add_u32 v211, v6, 1, 0x100
	v_lshlrev_b32_e32 v9, 3, v9
	v_lshl_add_u32 v213, v10, 1, 0x100
	v_add_nc_u32_e32 v214, 64, v212
	v_mov_b32_e32 v6, v1
	v_lshl_add_u32 v215, v11, 1, 0x100
	v_lshl_add_u32 v216, v12, 1, 0x100
	;; [unrolled: 1-line block ×3, first 2 shown]
	v_add_nc_u32_e32 v7, v7, v214
	v_lshl_add_u32 v218, v13, 1, 0x100
	v_dual_mov_b32 v8, v1 :: v_dual_mov_b32 v11, v1
	v_dual_mov_b32 v10, v1 :: v_dual_mov_b32 v13, v1
	s_delay_alu instid0(VALU_DEP_4)
	v_add3_u32 v219, v7, v9, 0xffffff80
	v_mov_b32_e32 v7, v1
	v_dual_mov_b32 v9, v1 :: v_dual_mov_b32 v12, v1
	v_dual_mov_b32 v15, v1 :: v_dual_mov_b32 v14, v1
	;; [unrolled: 1-line block ×26, first 2 shown]
	v_mov_b32_e32 v64, v1
	s_max_i32 s10, s22, 2
	s_delay_alu instid0(SALU_CYCLE_1)
	s_add_co_i32 s7, s10, -1
	s_mov_b32 s10, s14
.LBB4_12:                               ; =>This Inner Loop Header: Depth=1
	v_lshlrev_b32_e32 v220, 1, v207
	v_lshlrev_b32_e32 v221, 1, v199
	v_add_nc_u32_e32 v223, v208, v210
	s_wait_dscnt 0x0
	s_barrier_signal -1
	v_lshl_add_u32 v231, v198, 1, v220
	s_barrier_wait -1
	v_lshlrev_b32_e32 v222, 1, v212
	s_wait_loadcnt 0x7
	ds_store_b128 v220, v[141:144]
	v_wmma_f32_16x16x16_bf16 v[57:64], v[121:124], v[189:192], v[57:64]
	buffer_load_b128 v[141:144], v223, s[0:3], null offen
	v_add3_u32 v221, 0x80, v231, v221
	v_lshl_add_u32 v223, v200, 1, v231
	v_add_nc_u32_e32 v224, v208, v213
	v_add_nc_u32_e32 v225, v208, v218
	;; [unrolled: 1-line block ×7, first 2 shown]
	s_wait_loadcnt 0x7
	ds_store_b128 v231, v[133:136] offset:128
	v_wmma_f32_16x16x16_bf16 v[49:56], v[117:120], v[189:192], v[49:56]
	v_add3_u32 v189, 0x80, v221, v222
	v_lshl_add_u32 v190, v214, 1, v223
	buffer_load_b128 v[133:136], v224, s[0:3], null offen
	s_wait_loadcnt 0x5
	ds_store_b128 v221, v[157:160] offset:128
	v_wmma_f32_16x16x16_bf16 v[41:48], v[121:124], v[185:188], v[41:48]
	buffer_load_b128 v[157:160], v225, s[0:3], null offen
	s_wait_loadcnt 0x5
	ds_store_b128 v189, v[145:148] offset:128
	v_wmma_f32_16x16x16_bf16 v[33:40], v[117:120], v[185:188], v[33:40]
	buffer_load_b128 v[145:148], v226, s[0:3], null offen
	ds_store_b128 v220, v[149:152] offset:16384
	v_wmma_f32_16x16x16_bf16 v[25:32], v[121:124], v[181:184], v[25:32]
	buffer_load_b128 v[149:152], v227, s[8:11], null offen
	;; [unrolled: 3-line block ×3, first 2 shown]
	s_wait_loadcnt 0x7
	ds_store_b128 v223, v[161:164] offset:16512
	v_wmma_f32_16x16x16_bf16 v[9:16], v[121:124], v[113:116], v[9:16]
	buffer_load_b128 v[161:164], v229, s[8:11], null offen
	s_wait_loadcnt 0x7
	ds_store_b128 v190, v[153:156] offset:16512
	v_wmma_f32_16x16x16_bf16 v[1:8], v[117:120], v[113:116], v[1:8]
	buffer_load_b128 v[153:156], v230, s[8:11], null offen
	s_wait_dscnt 0x0
	s_barrier_signal -1
	s_barrier_wait -1
	ds_load_b128 v[189:192], v196
	v_wmma_f32_16x16x16_bf16 v[57:64], v[97:100], v[177:180], v[57:64]
	ds_load_b128 v[185:188], v196 offset:4096
	v_wmma_f32_16x16x16_bf16 v[49:56], v[93:96], v[177:180], v[49:56]
	ds_load_b128 v[181:184], v196 offset:8192
	v_wmma_f32_16x16x16_bf16 v[41:48], v[97:100], v[173:176], v[41:48]
	ds_load_b128 v[113:116], v196 offset:12288
	v_wmma_f32_16x16x16_bf16 v[33:40], v[93:96], v[173:176], v[33:40]
	ds_load_b128 v[121:124], v197 offset:16384
	v_wmma_f32_16x16x16_bf16 v[25:32], v[97:100], v[109:112], v[25:32]
	ds_load_b128 v[117:120], v197 offset:24576
	v_wmma_f32_16x16x16_bf16 v[17:24], v[93:96], v[109:112], v[17:24]
	ds_load_b128 v[177:180], v201
	v_wmma_f32_16x16x16_bf16 v[9:16], v[97:100], v[81:84], v[9:16]
	ds_load_b128 v[173:176], v201 offset:4096
	v_wmma_f32_16x16x16_bf16 v[1:8], v[93:96], v[81:84], v[1:8]
	ds_load_b128 v[109:112], v201 offset:8192
	v_wmma_f32_16x16x16_bf16 v[57:64], v[89:92], v[169:172], v[57:64]
	ds_load_b128 v[81:84], v201 offset:12288
	v_wmma_f32_16x16x16_bf16 v[49:56], v[77:80], v[169:172], v[49:56]
	ds_load_b128 v[97:100], v202 offset:16384
	v_wmma_f32_16x16x16_bf16 v[41:48], v[89:92], v[129:132], v[41:48]
	ds_load_b128 v[93:96], v202 offset:24576
	v_wmma_f32_16x16x16_bf16 v[33:40], v[77:80], v[129:132], v[33:40]
	ds_load_b128 v[169:172], v203
	v_wmma_f32_16x16x16_bf16 v[25:32], v[89:92], v[105:108], v[25:32]
	ds_load_b128 v[129:132], v203 offset:4096
	v_wmma_f32_16x16x16_bf16 v[17:24], v[77:80], v[105:108], v[17:24]
	ds_load_b128 v[105:108], v203 offset:8192
	v_wmma_f32_16x16x16_bf16 v[9:16], v[89:92], v[69:72], v[9:16]
	ds_load_b128 v[89:92], v204 offset:16384
	v_wmma_f32_16x16x16_bf16 v[1:8], v[77:80], v[69:72], v[1:8]
	ds_load_b128 v[69:72], v203 offset:12288
	v_wmma_f32_16x16x16_bf16 v[57:64], v[85:88], v[165:168], v[57:64]
	ds_load_b128 v[77:80], v204 offset:24576
	v_wmma_f32_16x16x16_bf16 v[49:56], v[73:76], v[165:168], v[49:56]
	ds_load_b128 v[165:168], v205
	v_wmma_f32_16x16x16_bf16 v[41:48], v[85:88], v[125:128], v[41:48]
	v_wmma_f32_16x16x16_bf16 v[1:8], v[73:76], v[65:68], v[1:8]
	;; [unrolled: 1-line block ×3, first 2 shown]
	ds_load_b128 v[65:68], v205 offset:12288
	v_wmma_f32_16x16x16_bf16 v[33:40], v[73:76], v[125:128], v[33:40]
	ds_load_b128 v[125:128], v205 offset:4096
	v_wmma_f32_16x16x16_bf16 v[17:24], v[73:76], v[101:104], v[17:24]
	v_wmma_f32_16x16x16_bf16 v[25:32], v[85:88], v[101:104], v[25:32]
	ds_load_b128 v[101:104], v205 offset:8192
	ds_load_b128 v[73:76], v206 offset:24576
	ds_load_b128 v[85:88], v206 offset:16384
	v_add_nc_u32_e32 v207, v207, v219
	; sched_group_barrier mask(0x00000200) size(1) SyncID(0)
	; sched_group_barrier mask(0x00000008) size(1) SyncID(0)
	;; [unrolled: 1-line block ×80, first 2 shown]
	; sched_barrier mask(0x00000000)
	v_add_nc_u32_e32 v215, 0x80, v215
	v_add_nc_u32_e32 v216, 0x80, v216
	;; [unrolled: 1-line block ×8, first 2 shown]
	s_add_co_i32 s7, s7, -1
	s_wait_alu 0xfffe
	s_cmp_lg_u32 s7, 0
	s_cbranch_scc1 .LBB4_12
; %bb.13:
	s_wait_dscnt 0x13
	v_wmma_f32_16x16x16_bf16 v[57:64], v[121:124], v[189:192], v[57:64]
	v_lshlrev_b32_e32 v0, 4, v0
	s_wait_loadcnt 0x6
	v_and_b32_e32 v135, 56, v194
	s_wait_dscnt 0x12
	v_wmma_f32_16x16x16_bf16 v[49:56], v[117:120], v[189:192], v[49:56]
	v_wmma_f32_16x16x16_bf16 v[41:48], v[121:124], v[185:188], v[41:48]
	s_wait_dscnt 0xd
	v_wmma_f32_16x16x16_bf16 v[57:64], v[97:100], v[177:180], v[57:64]
	v_and_b32_e32 v134, 0x70, v0
	v_lshlrev_b32_e32 v135, 1, v135
	s_wait_dscnt 0xc
	v_wmma_f32_16x16x16_bf16 v[49:56], v[93:96], v[177:180], v[49:56]
	s_wait_dscnt 0x0
	v_wmma_f32_16x16x16_bf16 v[57:64], v[89:92], v[169:172], v[57:64]
	v_or_b32_e32 v136, s6, v134
	s_barrier_signal -1
	v_wmma_f32_16x16x16_bf16 v[49:56], v[77:80], v[169:172], v[49:56]
	s_barrier_wait -1
	v_wmma_f32_16x16x16_bf16 v[57:64], v[85:88], v[165:168], v[57:64]
	v_lshl_or_b32 v133, s15, 7, v193
	v_wmma_f32_16x16x16_bf16 v[41:48], v[97:100], v[173:176], v[41:48]
	v_wmma_f32_16x16x16_bf16 v[49:56], v[73:76], v[165:168], v[49:56]
	s_lshl_b64 s[0:1], s[18:19], 1
	v_bfe_u32 v0, v57, 16, 1
	s_wait_loadcnt 0x2
	v_or_b32_e32 v138, 0x400000, v57
	v_bfe_u32 v139, v58, 16, 1
	v_cmp_u_f32_e32 vcc_lo, v57, v57
	v_bfe_u32 v140, v59, 16, 1
	v_add3_u32 v0, v0, v57, 0x7fff
	v_bfe_u32 v141, v60, 16, 1
	v_add3_u32 v57, v139, v58, 0x7fff
	v_bfe_u32 v142, v63, 16, 1
	v_add3_u32 v139, v140, v59, 0x7fff
	v_cndmask_b32_e32 v138, v0, v138, vcc_lo
	v_lshl_or_b32 v0, v195, 8, v135
	v_or_b32_e32 v135, 0x400000, v58
	v_cmp_u_f32_e32 vcc_lo, v58, v58
	v_or_b32_e32 v140, 0x400000, v59
	v_add3_u32 v58, v141, v60, 0x7fff
	v_bfe_u32 v141, v62, 16, 1
	v_bfe_u32 v143, v64, 16, 1
	s_wait_alu 0xfffd
	v_cndmask_b32_e32 v135, v57, v135, vcc_lo
	v_bfe_u32 v57, v61, 16, 1
	v_cmp_u_f32_e32 vcc_lo, v59, v59
	v_or_b32_e32 v144, 0x400000, v62
	v_or_b32_e32 v59, 0x400000, v60
	v_mul_lo_u32 v137, v133, s13
	v_add3_u32 v57, v57, v61, 0x7fff
	s_wait_alu 0xfffd
	v_cndmask_b32_e32 v139, v139, v140, vcc_lo
	v_or_b32_e32 v140, 0x400000, v61
	v_cmp_u_f32_e32 vcc_lo, v61, v61
	v_add3_u32 v61, v141, v62, 0x7fff
	v_or_b32_e32 v141, 0x400000, v63
	s_add_nc_u64 s[8:9], s[16:17], s[0:1]
	v_cmp_gt_i32_e64 s1, s4, v133
	s_wait_alu 0xfffd
	v_cndmask_b32_e32 v57, v57, v140, vcc_lo
	v_add3_u32 v140, v142, v63, 0x7fff
	v_cmp_u_f32_e32 vcc_lo, v63, v63
	v_add3_u32 v142, v143, v64, 0x7fff
	v_or_b32_e32 v143, 0x400000, v64
	s_mov_b32 s3, 0
	s_mov_b32 s2, s13
	s_wait_alu 0xfffd
	v_cndmask_b32_e32 v63, v140, v141, vcc_lo
	v_cmp_u_f32_e32 vcc_lo, v64, v64
	v_wmma_f32_16x16x16_bf16 v[41:48], v[89:92], v[129:132], v[41:48]
	s_mul_u64 s[2:3], s[20:21], s[2:3]
	s_and_b32 s9, s9, 0xffff
	s_add_co_i32 s2, s5, s3
	s_wait_alu 0xfffd
	v_cndmask_b32_e32 v64, v142, v143, vcc_lo
	v_cmp_u_f32_e32 vcc_lo, v62, v62
	v_bfe_u32 v62, v56, 16, 1
	v_wmma_f32_16x16x16_bf16 v[41:48], v[85:88], v[125:128], v[41:48]
	s_lshl_b32 s10, s2, 1
	s_mov_b32 s11, 0x31004000
	s_wait_alu 0xfffd
	v_cndmask_b32_e32 v61, v61, v144, vcc_lo
	v_cmp_u_f32_e32 vcc_lo, v60, v60
	v_wmma_f32_16x16x16_bf16 v[33:40], v[117:120], v[185:188], v[33:40]
	v_wmma_f32_16x16x16_bf16 v[25:32], v[121:124], v[181:184], v[25:32]
	s_lshl_b32 s2, s13, 6
	v_wmma_f32_16x16x16_bf16 v[17:24], v[117:120], v[181:184], v[17:24]
	s_wait_alu 0xfffd
	v_cndmask_b32_e32 v60, v58, v59, vcc_lo
	v_perm_b32 v59, v64, v63, 0x7060302
	v_bfe_u32 v63, v55, 16, 1
	v_perm_b32 v58, v61, v57, 0x7060302
	v_or_b32_e32 v61, 0x400000, v56
	v_perm_b32 v57, v60, v139, 0x7060302
	v_add3_u32 v60, v62, v56, 0x7fff
	v_cmp_u_f32_e32 vcc_lo, v56, v56
	v_add3_u32 v62, v63, v55, 0x7fff
	v_or_b32_e32 v63, 0x400000, v55
	v_bfe_u32 v64, v54, 16, 1
	v_bfe_u32 v56, v53, 16, 1
	s_wait_alu 0xfffd
	v_cndmask_b32_e32 v60, v60, v61, vcc_lo
	v_cmp_u_f32_e32 vcc_lo, v55, v55
	v_or_b32_e32 v139, 0x400000, v49
	v_add3_u32 v61, v64, v54, 0x7fff
	v_add3_u32 v56, v56, v53, 0x7fff
	v_or_b32_e32 v64, 0x400000, v53
	s_wait_alu 0xfffd
	v_cndmask_b32_e32 v55, v62, v63, vcc_lo
	v_or_b32_e32 v62, 0x400000, v54
	v_cmp_u_f32_e32 vcc_lo, v54, v54
	v_bfe_u32 v63, v52, 16, 1
	v_wmma_f32_16x16x16_bf16 v[33:40], v[93:96], v[173:176], v[33:40]
	v_wmma_f32_16x16x16_bf16 v[25:32], v[97:100], v[109:112], v[25:32]
	;; [unrolled: 1-line block ×3, first 2 shown]
	s_wait_alu 0xfffd
	v_cndmask_b32_e32 v54, v61, v62, vcc_lo
	v_cmp_u_f32_e32 vcc_lo, v53, v53
	v_add3_u32 v61, v63, v52, 0x7fff
	v_or_b32_e32 v62, 0x400000, v52
	v_bfe_u32 v63, v50, 16, 1
	v_wmma_f32_16x16x16_bf16 v[33:40], v[77:80], v[129:132], v[33:40]
	s_wait_alu 0xfffd
	v_cndmask_b32_e32 v53, v56, v64, vcc_lo
	v_bfe_u32 v56, v51, 16, 1
	v_cmp_u_f32_e32 vcc_lo, v52, v52
	v_bfe_u32 v52, v49, 16, 1
	v_add3_u32 v63, v63, v50, 0x7fff
	v_or_b32_e32 v64, 0x400000, v50
	v_add3_u32 v56, v56, v51, 0x7fff
	s_wait_alu 0xfffd
	v_cndmask_b32_e32 v61, v61, v62, vcc_lo
	v_or_b32_e32 v62, 0x400000, v51
	v_cmp_u_f32_e32 vcc_lo, v51, v51
	v_add3_u32 v52, v52, v49, 0x7fff
	v_perm_b32 v51, v54, v53, 0x7060302
	v_lshlrev_b32_e32 v53, 1, v134
	v_wmma_f32_16x16x16_bf16 v[33:40], v[73:76], v[125:128], v[33:40]
	s_wait_alu 0xfffd
	v_cndmask_b32_e32 v62, v56, v62, vcc_lo
	v_cmp_u_f32_e32 vcc_lo, v50, v50
	v_perm_b32 v56, v135, v138, 0x7060302
	v_wmma_f32_16x16x16_bf16 v[25:32], v[89:92], v[105:108], v[25:32]
	v_wmma_f32_16x16x16_bf16 v[17:24], v[77:80], v[105:108], v[17:24]
	v_perm_b32 v50, v61, v62, 0x7060302
	s_wait_alu 0xfffd
	v_cndmask_b32_e32 v63, v63, v64, vcc_lo
	v_cmp_u_f32_e32 vcc_lo, v49, v49
	v_bfe_u32 v61, v41, 16, 1
	v_wmma_f32_16x16x16_bf16 v[25:32], v[85:88], v[101:104], v[25:32]
	v_wmma_f32_16x16x16_bf16 v[17:24], v[73:76], v[101:104], v[17:24]
	;; [unrolled: 1-line block ×3, first 2 shown]
	s_wait_alu 0xfffd
	v_cndmask_b32_e32 v49, v52, v139, vcc_lo
	v_perm_b32 v52, v60, v55, 0x7060302
	v_cmp_gt_i32_e32 vcc_lo, s5, v136
	v_wmma_f32_16x16x16_bf16 v[1:8], v[117:120], v[113:116], v[1:8]
	v_wmma_f32_16x16x16_bf16 v[9:16], v[97:100], v[81:84], v[9:16]
	v_perm_b32 v49, v63, v49, 0x7060302
	ds_store_b128 v0, v[56:59]
	ds_store_b128 v0, v[49:52] offset:128
	v_lshl_or_b32 v49, v193, 8, v53
	v_or_b32_e32 v58, 8, v136
	s_wait_dscnt 0x0
	s_barrier_signal -1
	s_barrier_wait -1
	ds_load_b128 v[50:53], v49
	ds_load_b128 v[54:57], v49 offset:16
	v_cmp_gt_i32_e64 s0, s5, v58
	s_and_b32 s3, s1, vcc_lo
	v_add_lshl_u32 v58, v137, v136, 1
	v_cndmask_b32_e64 v59, 0x80000000, 0, s3
	v_wmma_f32_16x16x16_bf16 v[9:16], v[89:92], v[69:72], v[9:16]
	s_and_b32 s1, s1, s0
	v_wmma_f32_16x16x16_bf16 v[1:8], v[93:96], v[81:84], v[1:8]
	v_cndmask_b32_e64 v60, 0x80000000, 0, s1
	v_add_nc_u32_e32 v59, v59, v58
	v_cmp_u_f32_e64 s1, v41, v41
	v_wmma_f32_16x16x16_bf16 v[9:16], v[85:88], v[65:68], v[9:16]
	v_wmma_f32_16x16x16_bf16 v[1:8], v[77:80], v[69:72], v[1:8]
	v_add_nc_u32_e32 v60, v58, v60
	s_wait_dscnt 0x1
	buffer_store_b128 v[50:53], v59, s[8:11], null offen
	s_wait_dscnt 0x0
	buffer_store_b128 v[54:57], v60, s[8:11], null offen offset:16
	v_add3_u32 v50, v61, v41, 0x7fff
	v_or_b32_e32 v51, 0x400000, v41
	v_bfe_u32 v52, v42, 16, 1
	v_bfe_u32 v54, v43, 16, 1
	;; [unrolled: 1-line block ×4, first 2 shown]
	v_cndmask_b32_e64 v50, v50, v51, s1
	v_add3_u32 v41, v52, v42, 0x7fff
	v_or_b32_e32 v51, 0x400000, v42
	v_cmp_u_f32_e64 s1, v42, v42
	v_add3_u32 v52, v54, v43, 0x7fff
	v_or_b32_e32 v54, 0x400000, v43
	v_add3_u32 v42, v55, v44, 0x7fff
	v_bfe_u32 v55, v46, 16, 1
	s_wait_alu 0xf1ff
	v_cndmask_b32_e64 v51, v41, v51, s1
	v_bfe_u32 v41, v45, 16, 1
	v_cmp_u_f32_e64 s1, v43, v43
	v_bfe_u32 v57, v48, 16, 1
	v_or_b32_e32 v59, 0x400000, v46
	v_or_b32_e32 v43, 0x400000, v44
	v_add3_u32 v41, v41, v45, 0x7fff
	s_wait_alu 0xf1ff
	v_cndmask_b32_e64 v52, v52, v54, s1
	v_or_b32_e32 v54, 0x400000, v45
	v_cmp_u_f32_e64 s1, v45, v45
	v_add3_u32 v45, v55, v46, 0x7fff
	v_or_b32_e32 v55, 0x400000, v47
	v_or_b32_e32 v53, 32, v133
	s_wait_dscnt 0x0
	s_wait_alu 0xf1ff
	v_cndmask_b32_e64 v41, v41, v54, s1
	v_add3_u32 v54, v56, v47, 0x7fff
	v_cmp_u_f32_e64 s1, v47, v47
	v_add3_u32 v56, v57, v48, 0x7fff
	v_or_b32_e32 v57, 0x400000, v48
	s_barrier_signal -1
	s_barrier_wait -1
	s_wait_alu 0xf1ff
	v_cndmask_b32_e64 v47, v54, v55, s1
	v_cmp_u_f32_e64 s1, v48, v48
	v_wmma_f32_16x16x16_bf16 v[1:8], v[73:76], v[65:68], v[1:8]
	s_wait_alu 0xf1ff
	s_delay_alu instid0(VALU_DEP_2) | instskip(SKIP_3) | instid1(VALU_DEP_2)
	v_cndmask_b32_e64 v48, v56, v57, s1
	v_cmp_u_f32_e64 s1, v46, v46
	v_bfe_u32 v46, v40, 16, 1
	s_wait_alu 0xf1ff
	v_cndmask_b32_e64 v45, v45, v59, s1
	v_cmp_u_f32_e64 s1, v44, v44
	s_wait_alu 0xf1ff
	s_delay_alu instid0(VALU_DEP_1)
	v_cndmask_b32_e64 v44, v42, v43, s1
	v_perm_b32 v43, v48, v47, 0x7060302
	v_bfe_u32 v47, v39, 16, 1
	v_perm_b32 v42, v45, v41, 0x7060302
	v_or_b32_e32 v45, 0x400000, v40
	v_perm_b32 v41, v44, v52, 0x7060302
	v_add3_u32 v44, v46, v40, 0x7fff
	v_cmp_u_f32_e64 s1, v40, v40
	v_add3_u32 v46, v47, v39, 0x7fff
	v_or_b32_e32 v47, 0x400000, v39
	v_bfe_u32 v48, v38, 16, 1
	v_bfe_u32 v40, v37, 16, 1
	s_wait_alu 0xf1ff
	v_cndmask_b32_e64 v44, v44, v45, s1
	v_cmp_u_f32_e64 s1, v39, v39
	v_or_b32_e32 v52, 0x400000, v33
	v_add3_u32 v45, v48, v38, 0x7fff
	v_add3_u32 v40, v40, v37, 0x7fff
	v_or_b32_e32 v48, 0x400000, v37
	s_wait_alu 0xf1ff
	v_cndmask_b32_e64 v39, v46, v47, s1
	v_or_b32_e32 v46, 0x400000, v38
	v_cmp_u_f32_e64 s1, v38, v38
	v_bfe_u32 v47, v36, 16, 1
	s_wait_alu 0xf1ff
	s_delay_alu instid0(VALU_DEP_2) | instskip(SKIP_1) | instid1(VALU_DEP_3)
	v_cndmask_b32_e64 v38, v45, v46, s1
	v_cmp_u_f32_e64 s1, v37, v37
	v_add3_u32 v45, v47, v36, 0x7fff
	v_or_b32_e32 v46, 0x400000, v36
	v_bfe_u32 v47, v34, 16, 1
	s_wait_alu 0xf1ff
	v_cndmask_b32_e64 v37, v40, v48, s1
	v_bfe_u32 v40, v35, 16, 1
	v_cmp_u_f32_e64 s1, v36, v36
	v_bfe_u32 v36, v33, 16, 1
	v_add3_u32 v47, v47, v34, 0x7fff
	v_or_b32_e32 v48, 0x400000, v34
	v_add3_u32 v40, v40, v35, 0x7fff
	s_wait_alu 0xf1ff
	v_cndmask_b32_e64 v45, v45, v46, s1
	v_or_b32_e32 v46, 0x400000, v35
	v_cmp_u_f32_e64 s1, v35, v35
	v_add3_u32 v36, v36, v33, 0x7fff
	v_perm_b32 v35, v38, v37, 0x7060302
	s_wait_alu 0xf1ff
	s_delay_alu instid0(VALU_DEP_3) | instskip(SKIP_2) | instid1(VALU_DEP_3)
	v_cndmask_b32_e64 v46, v40, v46, s1
	v_cmp_u_f32_e64 s1, v34, v34
	v_perm_b32 v40, v51, v50, 0x7060302
	v_perm_b32 v34, v45, v46, 0x7060302
	s_wait_alu 0xf1ff
	s_delay_alu instid0(VALU_DEP_3) | instskip(SKIP_2) | instid1(VALU_DEP_1)
	v_cndmask_b32_e64 v47, v47, v48, s1
	v_cmp_u_f32_e64 s1, v33, v33
	s_wait_alu 0xf1ff
	v_cndmask_b32_e64 v33, v36, v52, s1
	v_perm_b32 v36, v44, v39, 0x7060302
	v_cmp_gt_i32_e64 s1, s4, v53
	v_bfe_u32 v44, v25, 16, 1
	s_delay_alu instid0(VALU_DEP_4)
	v_perm_b32 v33, v47, v33, 0x7060302
	ds_store_b128 v0, v[40:43]
	ds_store_b128 v0, v[33:36] offset:128
	s_wait_dscnt 0x0
	s_barrier_signal -1
	s_barrier_wait -1
	ds_load_b128 v[33:36], v49
	ds_load_b128 v[37:40], v49 offset:16
	s_and_b32 s3, vcc_lo, s1
	s_and_b32 s1, s1, s0
	v_add_nc_u32_e32 v41, s2, v58
	s_wait_alu 0xfffe
	v_cndmask_b32_e64 v42, 0x80000000, 0, s3
	v_cndmask_b32_e64 v43, 0x80000000, 0, s1
	v_cmp_u_f32_e64 s1, v25, v25
	s_delay_alu instid0(VALU_DEP_3) | instskip(NEXT) | instid1(VALU_DEP_3)
	v_add_nc_u32_e32 v42, v42, v41
	v_add_nc_u32_e32 v43, v41, v43
	s_wait_dscnt 0x1
	buffer_store_b128 v[33:36], v42, s[8:11], null offen
	s_wait_dscnt 0x0
	buffer_store_b128 v[37:40], v43, s[8:11], null offen offset:16
	v_add3_u32 v33, v44, v25, 0x7fff
	v_or_b32_e32 v34, 0x400000, v25
	v_bfe_u32 v35, v26, 16, 1
	v_bfe_u32 v37, v27, 16, 1
	;; [unrolled: 1-line block ×4, first 2 shown]
	v_cndmask_b32_e64 v33, v33, v34, s1
	v_add3_u32 v25, v35, v26, 0x7fff
	v_or_b32_e32 v34, 0x400000, v26
	v_cmp_u_f32_e64 s1, v26, v26
	v_add3_u32 v35, v37, v27, 0x7fff
	v_or_b32_e32 v37, 0x400000, v27
	v_add3_u32 v26, v38, v28, 0x7fff
	v_bfe_u32 v38, v30, 16, 1
	s_wait_alu 0xf1ff
	v_cndmask_b32_e64 v34, v25, v34, s1
	v_bfe_u32 v25, v29, 16, 1
	v_cmp_u_f32_e64 s1, v27, v27
	v_bfe_u32 v40, v32, 16, 1
	v_or_b32_e32 v42, 0x400000, v30
	v_or_b32_e32 v27, 0x400000, v28
	v_add3_u32 v25, v25, v29, 0x7fff
	s_wait_alu 0xf1ff
	v_cndmask_b32_e64 v35, v35, v37, s1
	v_or_b32_e32 v37, 0x400000, v29
	v_cmp_u_f32_e64 s1, v29, v29
	v_add3_u32 v29, v38, v30, 0x7fff
	v_or_b32_e32 v38, 0x400000, v31
	v_or_b32_e32 v36, 64, v133
	s_wait_dscnt 0x0
	s_wait_alu 0xf1ff
	v_cndmask_b32_e64 v25, v25, v37, s1
	v_add3_u32 v37, v39, v31, 0x7fff
	v_cmp_u_f32_e64 s1, v31, v31
	v_add3_u32 v39, v40, v32, 0x7fff
	v_or_b32_e32 v40, 0x400000, v32
	s_barrier_signal -1
	s_barrier_wait -1
	s_wait_alu 0xf1ff
	v_cndmask_b32_e64 v31, v37, v38, s1
	v_cmp_u_f32_e64 s1, v32, v32
	s_wait_alu 0xf1ff
	s_delay_alu instid0(VALU_DEP_1) | instskip(SKIP_3) | instid1(VALU_DEP_2)
	v_cndmask_b32_e64 v32, v39, v40, s1
	v_cmp_u_f32_e64 s1, v30, v30
	v_bfe_u32 v30, v24, 16, 1
	s_wait_alu 0xf1ff
	v_cndmask_b32_e64 v29, v29, v42, s1
	v_cmp_u_f32_e64 s1, v28, v28
	s_wait_alu 0xf1ff
	s_delay_alu instid0(VALU_DEP_1)
	v_cndmask_b32_e64 v28, v26, v27, s1
	v_perm_b32 v27, v32, v31, 0x7060302
	v_bfe_u32 v31, v23, 16, 1
	v_perm_b32 v26, v29, v25, 0x7060302
	v_or_b32_e32 v29, 0x400000, v24
	v_perm_b32 v25, v28, v35, 0x7060302
	v_add3_u32 v28, v30, v24, 0x7fff
	v_cmp_u_f32_e64 s1, v24, v24
	v_add3_u32 v30, v31, v23, 0x7fff
	v_or_b32_e32 v31, 0x400000, v23
	v_bfe_u32 v32, v22, 16, 1
	v_bfe_u32 v24, v21, 16, 1
	s_wait_alu 0xf1ff
	v_cndmask_b32_e64 v28, v28, v29, s1
	v_cmp_u_f32_e64 s1, v23, v23
	v_or_b32_e32 v35, 0x400000, v17
	v_add3_u32 v29, v32, v22, 0x7fff
	v_add3_u32 v24, v24, v21, 0x7fff
	v_or_b32_e32 v32, 0x400000, v21
	s_wait_alu 0xf1ff
	v_cndmask_b32_e64 v23, v30, v31, s1
	v_or_b32_e32 v30, 0x400000, v22
	v_cmp_u_f32_e64 s1, v22, v22
	v_bfe_u32 v31, v20, 16, 1
	s_wait_alu 0xf1ff
	s_delay_alu instid0(VALU_DEP_2) | instskip(SKIP_1) | instid1(VALU_DEP_3)
	v_cndmask_b32_e64 v22, v29, v30, s1
	v_cmp_u_f32_e64 s1, v21, v21
	v_add3_u32 v29, v31, v20, 0x7fff
	v_or_b32_e32 v30, 0x400000, v20
	v_bfe_u32 v31, v18, 16, 1
	s_wait_alu 0xf1ff
	v_cndmask_b32_e64 v21, v24, v32, s1
	v_bfe_u32 v24, v19, 16, 1
	v_cmp_u_f32_e64 s1, v20, v20
	v_bfe_u32 v20, v17, 16, 1
	v_add3_u32 v31, v31, v18, 0x7fff
	v_or_b32_e32 v32, 0x400000, v18
	v_add3_u32 v24, v24, v19, 0x7fff
	s_wait_alu 0xf1ff
	v_cndmask_b32_e64 v29, v29, v30, s1
	v_or_b32_e32 v30, 0x400000, v19
	v_cmp_u_f32_e64 s1, v19, v19
	v_add3_u32 v20, v20, v17, 0x7fff
	v_perm_b32 v19, v22, v21, 0x7060302
	s_wait_alu 0xf1ff
	s_delay_alu instid0(VALU_DEP_3) | instskip(SKIP_2) | instid1(VALU_DEP_3)
	v_cndmask_b32_e64 v30, v24, v30, s1
	v_cmp_u_f32_e64 s1, v18, v18
	v_perm_b32 v24, v34, v33, 0x7060302
	v_perm_b32 v18, v29, v30, 0x7060302
	s_wait_alu 0xf1ff
	s_delay_alu instid0(VALU_DEP_3) | instskip(SKIP_2) | instid1(VALU_DEP_1)
	v_cndmask_b32_e64 v31, v31, v32, s1
	v_cmp_u_f32_e64 s1, v17, v17
	s_wait_alu 0xf1ff
	v_cndmask_b32_e64 v17, v20, v35, s1
	v_perm_b32 v20, v28, v23, 0x7060302
	v_cmp_gt_i32_e64 s1, s4, v36
	v_bfe_u32 v28, v9, 16, 1
	s_delay_alu instid0(VALU_DEP_4)
	v_perm_b32 v17, v31, v17, 0x7060302
	ds_store_b128 v0, v[24:27]
	ds_store_b128 v0, v[17:20] offset:128
	s_wait_dscnt 0x0
	s_barrier_signal -1
	s_barrier_wait -1
	ds_load_b128 v[17:20], v49
	ds_load_b128 v[21:24], v49 offset:16
	s_and_b32 s3, vcc_lo, s1
	s_and_b32 s1, s1, s0
	v_add_nc_u32_e32 v25, s2, v41
	s_wait_alu 0xfffe
	v_cndmask_b32_e64 v26, 0x80000000, 0, s3
	v_cndmask_b32_e64 v27, 0x80000000, 0, s1
	v_cmp_u_f32_e64 s1, v9, v9
	s_delay_alu instid0(VALU_DEP_3) | instskip(NEXT) | instid1(VALU_DEP_3)
	v_add_nc_u32_e32 v26, v26, v25
	v_add_nc_u32_e32 v27, v25, v27
	s_wait_dscnt 0x1
	buffer_store_b128 v[17:20], v26, s[8:11], null offen
	s_wait_dscnt 0x0
	buffer_store_b128 v[21:24], v27, s[8:11], null offen offset:16
	v_add3_u32 v17, v28, v9, 0x7fff
	v_or_b32_e32 v18, 0x400000, v9
	v_bfe_u32 v19, v10, 16, 1
	v_bfe_u32 v21, v11, 16, 1
	;; [unrolled: 1-line block ×4, first 2 shown]
	v_cndmask_b32_e64 v17, v17, v18, s1
	v_add3_u32 v9, v19, v10, 0x7fff
	v_or_b32_e32 v18, 0x400000, v10
	v_cmp_u_f32_e64 s1, v10, v10
	v_add3_u32 v19, v21, v11, 0x7fff
	v_or_b32_e32 v21, 0x400000, v11
	v_add3_u32 v10, v22, v12, 0x7fff
	v_bfe_u32 v22, v14, 16, 1
	s_wait_alu 0xf1ff
	v_cndmask_b32_e64 v18, v9, v18, s1
	v_bfe_u32 v9, v13, 16, 1
	v_cmp_u_f32_e64 s1, v11, v11
	v_bfe_u32 v24, v16, 16, 1
	v_or_b32_e32 v26, 0x400000, v14
	v_or_b32_e32 v11, 0x400000, v12
	v_add3_u32 v9, v9, v13, 0x7fff
	s_wait_alu 0xf1ff
	v_cndmask_b32_e64 v19, v19, v21, s1
	v_or_b32_e32 v21, 0x400000, v13
	v_cmp_u_f32_e64 s1, v13, v13
	v_add3_u32 v13, v22, v14, 0x7fff
	v_or_b32_e32 v22, 0x400000, v15
	v_or_b32_e32 v20, 0x60, v133
	s_wait_dscnt 0x0
	s_wait_alu 0xf1ff
	v_cndmask_b32_e64 v9, v9, v21, s1
	v_add3_u32 v21, v23, v15, 0x7fff
	v_cmp_u_f32_e64 s1, v15, v15
	v_add3_u32 v23, v24, v16, 0x7fff
	v_or_b32_e32 v24, 0x400000, v16
	s_barrier_signal -1
	s_barrier_wait -1
	s_wait_alu 0xf1ff
	v_cndmask_b32_e64 v15, v21, v22, s1
	v_cmp_u_f32_e64 s1, v16, v16
	s_wait_alu 0xf1ff
	s_delay_alu instid0(VALU_DEP_1) | instskip(SKIP_3) | instid1(VALU_DEP_2)
	v_cndmask_b32_e64 v16, v23, v24, s1
	v_cmp_u_f32_e64 s1, v14, v14
	v_bfe_u32 v14, v8, 16, 1
	s_wait_alu 0xf1ff
	v_cndmask_b32_e64 v13, v13, v26, s1
	v_cmp_u_f32_e64 s1, v12, v12
	s_wait_alu 0xf1ff
	s_delay_alu instid0(VALU_DEP_1)
	v_cndmask_b32_e64 v12, v10, v11, s1
	v_perm_b32 v11, v16, v15, 0x7060302
	v_bfe_u32 v15, v7, 16, 1
	v_perm_b32 v10, v13, v9, 0x7060302
	v_or_b32_e32 v13, 0x400000, v8
	v_perm_b32 v9, v12, v19, 0x7060302
	v_add3_u32 v12, v14, v8, 0x7fff
	v_cmp_u_f32_e64 s1, v8, v8
	v_add3_u32 v14, v15, v7, 0x7fff
	v_or_b32_e32 v15, 0x400000, v7
	v_bfe_u32 v16, v6, 16, 1
	v_bfe_u32 v8, v5, 16, 1
	s_wait_alu 0xf1ff
	v_cndmask_b32_e64 v12, v12, v13, s1
	v_cmp_u_f32_e64 s1, v7, v7
	v_or_b32_e32 v19, 0x400000, v1
	v_add3_u32 v13, v16, v6, 0x7fff
	v_add3_u32 v8, v8, v5, 0x7fff
	v_or_b32_e32 v16, 0x400000, v5
	s_wait_alu 0xf1ff
	v_cndmask_b32_e64 v7, v14, v15, s1
	v_or_b32_e32 v14, 0x400000, v6
	v_cmp_u_f32_e64 s1, v6, v6
	v_bfe_u32 v15, v4, 16, 1
	s_wait_alu 0xf1ff
	s_delay_alu instid0(VALU_DEP_2) | instskip(SKIP_1) | instid1(VALU_DEP_3)
	v_cndmask_b32_e64 v6, v13, v14, s1
	v_cmp_u_f32_e64 s1, v5, v5
	v_add3_u32 v13, v15, v4, 0x7fff
	v_or_b32_e32 v14, 0x400000, v4
	v_bfe_u32 v15, v2, 16, 1
	s_wait_alu 0xf1ff
	v_cndmask_b32_e64 v5, v8, v16, s1
	v_bfe_u32 v8, v3, 16, 1
	v_cmp_u_f32_e64 s1, v4, v4
	v_bfe_u32 v4, v1, 16, 1
	v_add3_u32 v15, v15, v2, 0x7fff
	v_or_b32_e32 v16, 0x400000, v2
	v_add3_u32 v8, v8, v3, 0x7fff
	s_wait_alu 0xf1ff
	v_cndmask_b32_e64 v13, v13, v14, s1
	v_or_b32_e32 v14, 0x400000, v3
	v_cmp_u_f32_e64 s1, v3, v3
	v_add3_u32 v4, v4, v1, 0x7fff
	v_perm_b32 v3, v6, v5, 0x7060302
	s_wait_alu 0xf1ff
	s_delay_alu instid0(VALU_DEP_3) | instskip(SKIP_2) | instid1(VALU_DEP_3)
	v_cndmask_b32_e64 v14, v8, v14, s1
	v_cmp_u_f32_e64 s1, v2, v2
	v_perm_b32 v8, v18, v17, 0x7060302
	v_perm_b32 v2, v13, v14, 0x7060302
	s_wait_alu 0xf1ff
	s_delay_alu instid0(VALU_DEP_3) | instskip(SKIP_2) | instid1(VALU_DEP_1)
	v_cndmask_b32_e64 v15, v15, v16, s1
	v_cmp_u_f32_e64 s1, v1, v1
	s_wait_alu 0xf1ff
	v_cndmask_b32_e64 v1, v4, v19, s1
	v_perm_b32 v4, v12, v7, 0x7060302
	v_cmp_gt_i32_e64 s1, s4, v20
	s_delay_alu instid0(VALU_DEP_3)
	v_perm_b32 v1, v15, v1, 0x7060302
	ds_store_b128 v0, v[8:11]
	ds_store_b128 v0, v[1:4] offset:128
	s_wait_dscnt 0x0
	s_barrier_signal -1
	s_barrier_wait -1
	ds_load_b128 v[0:3], v49
	ds_load_b128 v[4:7], v49 offset:16
	v_add_nc_u32_e32 v8, s2, v25
	s_and_b32 s2, vcc_lo, s1
	s_and_b32 s0, s1, s0
	s_wait_alu 0xfffe
	v_cndmask_b32_e64 v9, 0x80000000, 0, s2
	v_cndmask_b32_e64 v10, 0x80000000, 0, s0
	s_delay_alu instid0(VALU_DEP_2) | instskip(NEXT) | instid1(VALU_DEP_2)
	v_add_nc_u32_e32 v9, v9, v8
	v_add_nc_u32_e32 v8, v8, v10
	s_wait_dscnt 0x1
	buffer_store_b128 v[0:3], v9, s[8:11], null offen
	s_wait_dscnt 0x0
	buffer_store_b128 v[4:7], v8, s[8:11], null offen offset:16
	s_nop 0
	s_sendmsg sendmsg(MSG_DEALLOC_VGPRS)
	s_endpgm
	.section	.rodata,"a",@progbits
	.p2align	6, 0x0
	.amdhsa_kernel _ZN2ck27kernel_gemm_xdl_cshuffle_v3INS_28GridwiseGemm_xdl_cshuffle_v3INS_13tensor_layout4gemm8RowMajorENS3_11ColumnMajorES4_DF16bDF16bfDF16bDF16bNS_16tensor_operation12element_wise11PassThroughES8_S8_LNS6_6device18GemmSpecializationE0ELi256ELi128ELi128ELi64ELi8ELi8ELi16ELi16ELi4ELi2ENS_8SequenceIJLi8ELi32ELi1EEEENSB_IJLi1ELi0ELi2EEEESD_Li2ELi8ELi8ELb0ELi0ESC_SD_SD_Li2ELi8ELi8ELb0ELi0ELi1ELi2ENSB_IJLi1ELi32ELi1ELi8EEEELi8ELNS_26BlockGemmPipelineSchedulerE0ELNS_24BlockGemmPipelineVersionE2EDF16bDF16bLb0ELb0ELb0ELi0ELb0EEELb1ELNS_25InMemoryDataOperationEnumE0ELi2ELNS_10TailNumberE10EEEvNT_8ArgumentE
		.amdhsa_group_segment_fixed_size 32768
		.amdhsa_private_segment_fixed_size 0
		.amdhsa_kernarg_size 112
		.amdhsa_user_sgpr_count 2
		.amdhsa_user_sgpr_dispatch_ptr 0
		.amdhsa_user_sgpr_queue_ptr 0
		.amdhsa_user_sgpr_kernarg_segment_ptr 1
		.amdhsa_user_sgpr_dispatch_id 0
		.amdhsa_user_sgpr_private_segment_size 0
		.amdhsa_wavefront_size32 1
		.amdhsa_uses_dynamic_stack 0
		.amdhsa_enable_private_segment 0
		.amdhsa_system_sgpr_workgroup_id_x 1
		.amdhsa_system_sgpr_workgroup_id_y 0
		.amdhsa_system_sgpr_workgroup_id_z 1
		.amdhsa_system_sgpr_workgroup_info 0
		.amdhsa_system_vgpr_workitem_id 0
		.amdhsa_next_free_vgpr 232
		.amdhsa_next_free_sgpr 30
		.amdhsa_reserve_vcc 1
		.amdhsa_float_round_mode_32 0
		.amdhsa_float_round_mode_16_64 0
		.amdhsa_float_denorm_mode_32 3
		.amdhsa_float_denorm_mode_16_64 3
		.amdhsa_fp16_overflow 0
		.amdhsa_workgroup_processor_mode 1
		.amdhsa_memory_ordered 1
		.amdhsa_forward_progress 1
		.amdhsa_inst_pref_size 60
		.amdhsa_round_robin_scheduling 0
		.amdhsa_exception_fp_ieee_invalid_op 0
		.amdhsa_exception_fp_denorm_src 0
		.amdhsa_exception_fp_ieee_div_zero 0
		.amdhsa_exception_fp_ieee_overflow 0
		.amdhsa_exception_fp_ieee_underflow 0
		.amdhsa_exception_fp_ieee_inexact 0
		.amdhsa_exception_int_div_zero 0
	.end_amdhsa_kernel
	.section	.text._ZN2ck27kernel_gemm_xdl_cshuffle_v3INS_28GridwiseGemm_xdl_cshuffle_v3INS_13tensor_layout4gemm8RowMajorENS3_11ColumnMajorES4_DF16bDF16bfDF16bDF16bNS_16tensor_operation12element_wise11PassThroughES8_S8_LNS6_6device18GemmSpecializationE0ELi256ELi128ELi128ELi64ELi8ELi8ELi16ELi16ELi4ELi2ENS_8SequenceIJLi8ELi32ELi1EEEENSB_IJLi1ELi0ELi2EEEESD_Li2ELi8ELi8ELb0ELi0ESC_SD_SD_Li2ELi8ELi8ELb0ELi0ELi1ELi2ENSB_IJLi1ELi32ELi1ELi8EEEELi8ELNS_26BlockGemmPipelineSchedulerE0ELNS_24BlockGemmPipelineVersionE2EDF16bDF16bLb0ELb0ELb0ELi0ELb0EEELb1ELNS_25InMemoryDataOperationEnumE0ELi2ELNS_10TailNumberE10EEEvNT_8ArgumentE,"axG",@progbits,_ZN2ck27kernel_gemm_xdl_cshuffle_v3INS_28GridwiseGemm_xdl_cshuffle_v3INS_13tensor_layout4gemm8RowMajorENS3_11ColumnMajorES4_DF16bDF16bfDF16bDF16bNS_16tensor_operation12element_wise11PassThroughES8_S8_LNS6_6device18GemmSpecializationE0ELi256ELi128ELi128ELi64ELi8ELi8ELi16ELi16ELi4ELi2ENS_8SequenceIJLi8ELi32ELi1EEEENSB_IJLi1ELi0ELi2EEEESD_Li2ELi8ELi8ELb0ELi0ESC_SD_SD_Li2ELi8ELi8ELb0ELi0ELi1ELi2ENSB_IJLi1ELi32ELi1ELi8EEEELi8ELNS_26BlockGemmPipelineSchedulerE0ELNS_24BlockGemmPipelineVersionE2EDF16bDF16bLb0ELb0ELb0ELi0ELb0EEELb1ELNS_25InMemoryDataOperationEnumE0ELi2ELNS_10TailNumberE10EEEvNT_8ArgumentE,comdat
.Lfunc_end4:
	.size	_ZN2ck27kernel_gemm_xdl_cshuffle_v3INS_28GridwiseGemm_xdl_cshuffle_v3INS_13tensor_layout4gemm8RowMajorENS3_11ColumnMajorES4_DF16bDF16bfDF16bDF16bNS_16tensor_operation12element_wise11PassThroughES8_S8_LNS6_6device18GemmSpecializationE0ELi256ELi128ELi128ELi64ELi8ELi8ELi16ELi16ELi4ELi2ENS_8SequenceIJLi8ELi32ELi1EEEENSB_IJLi1ELi0ELi2EEEESD_Li2ELi8ELi8ELb0ELi0ESC_SD_SD_Li2ELi8ELi8ELb0ELi0ELi1ELi2ENSB_IJLi1ELi32ELi1ELi8EEEELi8ELNS_26BlockGemmPipelineSchedulerE0ELNS_24BlockGemmPipelineVersionE2EDF16bDF16bLb0ELb0ELb0ELi0ELb0EEELb1ELNS_25InMemoryDataOperationEnumE0ELi2ELNS_10TailNumberE10EEEvNT_8ArgumentE, .Lfunc_end4-_ZN2ck27kernel_gemm_xdl_cshuffle_v3INS_28GridwiseGemm_xdl_cshuffle_v3INS_13tensor_layout4gemm8RowMajorENS3_11ColumnMajorES4_DF16bDF16bfDF16bDF16bNS_16tensor_operation12element_wise11PassThroughES8_S8_LNS6_6device18GemmSpecializationE0ELi256ELi128ELi128ELi64ELi8ELi8ELi16ELi16ELi4ELi2ENS_8SequenceIJLi8ELi32ELi1EEEENSB_IJLi1ELi0ELi2EEEESD_Li2ELi8ELi8ELb0ELi0ESC_SD_SD_Li2ELi8ELi8ELb0ELi0ELi1ELi2ENSB_IJLi1ELi32ELi1ELi8EEEELi8ELNS_26BlockGemmPipelineSchedulerE0ELNS_24BlockGemmPipelineVersionE2EDF16bDF16bLb0ELb0ELb0ELi0ELb0EEELb1ELNS_25InMemoryDataOperationEnumE0ELi2ELNS_10TailNumberE10EEEvNT_8ArgumentE
                                        ; -- End function
	.set _ZN2ck27kernel_gemm_xdl_cshuffle_v3INS_28GridwiseGemm_xdl_cshuffle_v3INS_13tensor_layout4gemm8RowMajorENS3_11ColumnMajorES4_DF16bDF16bfDF16bDF16bNS_16tensor_operation12element_wise11PassThroughES8_S8_LNS6_6device18GemmSpecializationE0ELi256ELi128ELi128ELi64ELi8ELi8ELi16ELi16ELi4ELi2ENS_8SequenceIJLi8ELi32ELi1EEEENSB_IJLi1ELi0ELi2EEEESD_Li2ELi8ELi8ELb0ELi0ESC_SD_SD_Li2ELi8ELi8ELb0ELi0ELi1ELi2ENSB_IJLi1ELi32ELi1ELi8EEEELi8ELNS_26BlockGemmPipelineSchedulerE0ELNS_24BlockGemmPipelineVersionE2EDF16bDF16bLb0ELb0ELb0ELi0ELb0EEELb1ELNS_25InMemoryDataOperationEnumE0ELi2ELNS_10TailNumberE10EEEvNT_8ArgumentE.num_vgpr, 232
	.set _ZN2ck27kernel_gemm_xdl_cshuffle_v3INS_28GridwiseGemm_xdl_cshuffle_v3INS_13tensor_layout4gemm8RowMajorENS3_11ColumnMajorES4_DF16bDF16bfDF16bDF16bNS_16tensor_operation12element_wise11PassThroughES8_S8_LNS6_6device18GemmSpecializationE0ELi256ELi128ELi128ELi64ELi8ELi8ELi16ELi16ELi4ELi2ENS_8SequenceIJLi8ELi32ELi1EEEENSB_IJLi1ELi0ELi2EEEESD_Li2ELi8ELi8ELb0ELi0ESC_SD_SD_Li2ELi8ELi8ELb0ELi0ELi1ELi2ENSB_IJLi1ELi32ELi1ELi8EEEELi8ELNS_26BlockGemmPipelineSchedulerE0ELNS_24BlockGemmPipelineVersionE2EDF16bDF16bLb0ELb0ELb0ELi0ELb0EEELb1ELNS_25InMemoryDataOperationEnumE0ELi2ELNS_10TailNumberE10EEEvNT_8ArgumentE.num_agpr, 0
	.set _ZN2ck27kernel_gemm_xdl_cshuffle_v3INS_28GridwiseGemm_xdl_cshuffle_v3INS_13tensor_layout4gemm8RowMajorENS3_11ColumnMajorES4_DF16bDF16bfDF16bDF16bNS_16tensor_operation12element_wise11PassThroughES8_S8_LNS6_6device18GemmSpecializationE0ELi256ELi128ELi128ELi64ELi8ELi8ELi16ELi16ELi4ELi2ENS_8SequenceIJLi8ELi32ELi1EEEENSB_IJLi1ELi0ELi2EEEESD_Li2ELi8ELi8ELb0ELi0ESC_SD_SD_Li2ELi8ELi8ELb0ELi0ELi1ELi2ENSB_IJLi1ELi32ELi1ELi8EEEELi8ELNS_26BlockGemmPipelineSchedulerE0ELNS_24BlockGemmPipelineVersionE2EDF16bDF16bLb0ELb0ELb0ELi0ELb0EEELb1ELNS_25InMemoryDataOperationEnumE0ELi2ELNS_10TailNumberE10EEEvNT_8ArgumentE.numbered_sgpr, 30
	.set _ZN2ck27kernel_gemm_xdl_cshuffle_v3INS_28GridwiseGemm_xdl_cshuffle_v3INS_13tensor_layout4gemm8RowMajorENS3_11ColumnMajorES4_DF16bDF16bfDF16bDF16bNS_16tensor_operation12element_wise11PassThroughES8_S8_LNS6_6device18GemmSpecializationE0ELi256ELi128ELi128ELi64ELi8ELi8ELi16ELi16ELi4ELi2ENS_8SequenceIJLi8ELi32ELi1EEEENSB_IJLi1ELi0ELi2EEEESD_Li2ELi8ELi8ELb0ELi0ESC_SD_SD_Li2ELi8ELi8ELb0ELi0ELi1ELi2ENSB_IJLi1ELi32ELi1ELi8EEEELi8ELNS_26BlockGemmPipelineSchedulerE0ELNS_24BlockGemmPipelineVersionE2EDF16bDF16bLb0ELb0ELb0ELi0ELb0EEELb1ELNS_25InMemoryDataOperationEnumE0ELi2ELNS_10TailNumberE10EEEvNT_8ArgumentE.num_named_barrier, 0
	.set _ZN2ck27kernel_gemm_xdl_cshuffle_v3INS_28GridwiseGemm_xdl_cshuffle_v3INS_13tensor_layout4gemm8RowMajorENS3_11ColumnMajorES4_DF16bDF16bfDF16bDF16bNS_16tensor_operation12element_wise11PassThroughES8_S8_LNS6_6device18GemmSpecializationE0ELi256ELi128ELi128ELi64ELi8ELi8ELi16ELi16ELi4ELi2ENS_8SequenceIJLi8ELi32ELi1EEEENSB_IJLi1ELi0ELi2EEEESD_Li2ELi8ELi8ELb0ELi0ESC_SD_SD_Li2ELi8ELi8ELb0ELi0ELi1ELi2ENSB_IJLi1ELi32ELi1ELi8EEEELi8ELNS_26BlockGemmPipelineSchedulerE0ELNS_24BlockGemmPipelineVersionE2EDF16bDF16bLb0ELb0ELb0ELi0ELb0EEELb1ELNS_25InMemoryDataOperationEnumE0ELi2ELNS_10TailNumberE10EEEvNT_8ArgumentE.private_seg_size, 0
	.set _ZN2ck27kernel_gemm_xdl_cshuffle_v3INS_28GridwiseGemm_xdl_cshuffle_v3INS_13tensor_layout4gemm8RowMajorENS3_11ColumnMajorES4_DF16bDF16bfDF16bDF16bNS_16tensor_operation12element_wise11PassThroughES8_S8_LNS6_6device18GemmSpecializationE0ELi256ELi128ELi128ELi64ELi8ELi8ELi16ELi16ELi4ELi2ENS_8SequenceIJLi8ELi32ELi1EEEENSB_IJLi1ELi0ELi2EEEESD_Li2ELi8ELi8ELb0ELi0ESC_SD_SD_Li2ELi8ELi8ELb0ELi0ELi1ELi2ENSB_IJLi1ELi32ELi1ELi8EEEELi8ELNS_26BlockGemmPipelineSchedulerE0ELNS_24BlockGemmPipelineVersionE2EDF16bDF16bLb0ELb0ELb0ELi0ELb0EEELb1ELNS_25InMemoryDataOperationEnumE0ELi2ELNS_10TailNumberE10EEEvNT_8ArgumentE.uses_vcc, 1
	.set _ZN2ck27kernel_gemm_xdl_cshuffle_v3INS_28GridwiseGemm_xdl_cshuffle_v3INS_13tensor_layout4gemm8RowMajorENS3_11ColumnMajorES4_DF16bDF16bfDF16bDF16bNS_16tensor_operation12element_wise11PassThroughES8_S8_LNS6_6device18GemmSpecializationE0ELi256ELi128ELi128ELi64ELi8ELi8ELi16ELi16ELi4ELi2ENS_8SequenceIJLi8ELi32ELi1EEEENSB_IJLi1ELi0ELi2EEEESD_Li2ELi8ELi8ELb0ELi0ESC_SD_SD_Li2ELi8ELi8ELb0ELi0ELi1ELi2ENSB_IJLi1ELi32ELi1ELi8EEEELi8ELNS_26BlockGemmPipelineSchedulerE0ELNS_24BlockGemmPipelineVersionE2EDF16bDF16bLb0ELb0ELb0ELi0ELb0EEELb1ELNS_25InMemoryDataOperationEnumE0ELi2ELNS_10TailNumberE10EEEvNT_8ArgumentE.uses_flat_scratch, 0
	.set _ZN2ck27kernel_gemm_xdl_cshuffle_v3INS_28GridwiseGemm_xdl_cshuffle_v3INS_13tensor_layout4gemm8RowMajorENS3_11ColumnMajorES4_DF16bDF16bfDF16bDF16bNS_16tensor_operation12element_wise11PassThroughES8_S8_LNS6_6device18GemmSpecializationE0ELi256ELi128ELi128ELi64ELi8ELi8ELi16ELi16ELi4ELi2ENS_8SequenceIJLi8ELi32ELi1EEEENSB_IJLi1ELi0ELi2EEEESD_Li2ELi8ELi8ELb0ELi0ESC_SD_SD_Li2ELi8ELi8ELb0ELi0ELi1ELi2ENSB_IJLi1ELi32ELi1ELi8EEEELi8ELNS_26BlockGemmPipelineSchedulerE0ELNS_24BlockGemmPipelineVersionE2EDF16bDF16bLb0ELb0ELb0ELi0ELb0EEELb1ELNS_25InMemoryDataOperationEnumE0ELi2ELNS_10TailNumberE10EEEvNT_8ArgumentE.has_dyn_sized_stack, 0
	.set _ZN2ck27kernel_gemm_xdl_cshuffle_v3INS_28GridwiseGemm_xdl_cshuffle_v3INS_13tensor_layout4gemm8RowMajorENS3_11ColumnMajorES4_DF16bDF16bfDF16bDF16bNS_16tensor_operation12element_wise11PassThroughES8_S8_LNS6_6device18GemmSpecializationE0ELi256ELi128ELi128ELi64ELi8ELi8ELi16ELi16ELi4ELi2ENS_8SequenceIJLi8ELi32ELi1EEEENSB_IJLi1ELi0ELi2EEEESD_Li2ELi8ELi8ELb0ELi0ESC_SD_SD_Li2ELi8ELi8ELb0ELi0ELi1ELi2ENSB_IJLi1ELi32ELi1ELi8EEEELi8ELNS_26BlockGemmPipelineSchedulerE0ELNS_24BlockGemmPipelineVersionE2EDF16bDF16bLb0ELb0ELb0ELi0ELb0EEELb1ELNS_25InMemoryDataOperationEnumE0ELi2ELNS_10TailNumberE10EEEvNT_8ArgumentE.has_recursion, 0
	.set _ZN2ck27kernel_gemm_xdl_cshuffle_v3INS_28GridwiseGemm_xdl_cshuffle_v3INS_13tensor_layout4gemm8RowMajorENS3_11ColumnMajorES4_DF16bDF16bfDF16bDF16bNS_16tensor_operation12element_wise11PassThroughES8_S8_LNS6_6device18GemmSpecializationE0ELi256ELi128ELi128ELi64ELi8ELi8ELi16ELi16ELi4ELi2ENS_8SequenceIJLi8ELi32ELi1EEEENSB_IJLi1ELi0ELi2EEEESD_Li2ELi8ELi8ELb0ELi0ESC_SD_SD_Li2ELi8ELi8ELb0ELi0ELi1ELi2ENSB_IJLi1ELi32ELi1ELi8EEEELi8ELNS_26BlockGemmPipelineSchedulerE0ELNS_24BlockGemmPipelineVersionE2EDF16bDF16bLb0ELb0ELb0ELi0ELb0EEELb1ELNS_25InMemoryDataOperationEnumE0ELi2ELNS_10TailNumberE10EEEvNT_8ArgumentE.has_indirect_call, 0
	.section	.AMDGPU.csdata,"",@progbits
; Kernel info:
; codeLenInByte = 7616
; TotalNumSgprs: 32
; NumVgprs: 232
; ScratchSize: 0
; MemoryBound: 0
; FloatMode: 240
; IeeeMode: 1
; LDSByteSize: 32768 bytes/workgroup (compile time only)
; SGPRBlocks: 0
; VGPRBlocks: 28
; NumSGPRsForWavesPerEU: 32
; NumVGPRsForWavesPerEU: 232
; Occupancy: 6
; WaveLimiterHint : 0
; COMPUTE_PGM_RSRC2:SCRATCH_EN: 0
; COMPUTE_PGM_RSRC2:USER_SGPR: 2
; COMPUTE_PGM_RSRC2:TRAP_HANDLER: 0
; COMPUTE_PGM_RSRC2:TGID_X_EN: 1
; COMPUTE_PGM_RSRC2:TGID_Y_EN: 0
; COMPUTE_PGM_RSRC2:TGID_Z_EN: 1
; COMPUTE_PGM_RSRC2:TIDIG_COMP_CNT: 0
	.section	.AMDGPU.gpr_maximums,"",@progbits
	.set amdgpu.max_num_vgpr, 0
	.set amdgpu.max_num_agpr, 0
	.set amdgpu.max_num_sgpr, 0
	.section	.AMDGPU.csdata,"",@progbits
	.type	__hip_cuid_701e73c012138d24,@object ; @__hip_cuid_701e73c012138d24
	.section	.bss,"aw",@nobits
	.globl	__hip_cuid_701e73c012138d24
__hip_cuid_701e73c012138d24:
	.byte	0                               ; 0x0
	.size	__hip_cuid_701e73c012138d24, 1

	.ident	"AMD clang version 22.0.0git (https://github.com/RadeonOpenCompute/llvm-project roc-7.2.4 26084 f58b06dce1f9c15707c5f808fd002e18c2accf7e)"
	.section	".note.GNU-stack","",@progbits
	.addrsig
	.addrsig_sym __hip_cuid_701e73c012138d24
	.amdgpu_metadata
---
amdhsa.kernels:
  - .args:           []
    .group_segment_fixed_size: 0
    .kernarg_segment_align: 4
    .kernarg_segment_size: 0
    .language:       OpenCL C
    .language_version:
      - 2
      - 0
    .max_flat_workgroup_size: 1024
    .name:           _ZN2ckL12flush_icacheEv
    .private_segment_fixed_size: 0
    .sgpr_count:     0
    .sgpr_spill_count: 0
    .symbol:         _ZN2ckL12flush_icacheEv.kd
    .uniform_work_group_size: 1
    .uses_dynamic_stack: false
    .vgpr_count:     0
    .vgpr_spill_count: 0
    .wavefront_size: 32
    .workgroup_processor_mode: 1
  - .args:
      - .offset:         0
        .size:           112
        .value_kind:     by_value
    .group_segment_fixed_size: 0
    .kernarg_segment_align: 8
    .kernarg_segment_size: 112
    .language:       OpenCL C
    .language_version:
      - 2
      - 0
    .max_flat_workgroup_size: 256
    .name:           _ZN2ck27kernel_gemm_xdl_cshuffle_v3INS_28GridwiseGemm_xdl_cshuffle_v3INS_13tensor_layout4gemm8RowMajorENS3_11ColumnMajorES4_DF16bDF16bfDF16bDF16bNS_16tensor_operation12element_wise11PassThroughES8_S8_LNS6_6device18GemmSpecializationE0ELi256ELi128ELi128ELi64ELi8ELi8ELi16ELi16ELi4ELi4ENS_8SequenceIJLi8ELi32ELi1EEEENSB_IJLi1ELi0ELi2EEEESD_Li2ELi8ELi8ELb0ELi0ESC_SD_SD_Li2ELi8ELi8ELb0ELi0ELi1ELi2ENSB_IJLi1ELi32ELi1ELi8EEEELi8ELNS_26BlockGemmPipelineSchedulerE0ELNS_24BlockGemmPipelineVersionE2EDF16bDF16bLb0ELb0ELb0ELi0ELb0EEELb1ELNS_25InMemoryDataOperationEnumE1ELi2ELNS_10TailNumberE10EEEvNT_8ArgumentE
    .private_segment_fixed_size: 0
    .sgpr_count:     0
    .sgpr_spill_count: 0
    .symbol:         _ZN2ck27kernel_gemm_xdl_cshuffle_v3INS_28GridwiseGemm_xdl_cshuffle_v3INS_13tensor_layout4gemm8RowMajorENS3_11ColumnMajorES4_DF16bDF16bfDF16bDF16bNS_16tensor_operation12element_wise11PassThroughES8_S8_LNS6_6device18GemmSpecializationE0ELi256ELi128ELi128ELi64ELi8ELi8ELi16ELi16ELi4ELi4ENS_8SequenceIJLi8ELi32ELi1EEEENSB_IJLi1ELi0ELi2EEEESD_Li2ELi8ELi8ELb0ELi0ESC_SD_SD_Li2ELi8ELi8ELb0ELi0ELi1ELi2ENSB_IJLi1ELi32ELi1ELi8EEEELi8ELNS_26BlockGemmPipelineSchedulerE0ELNS_24BlockGemmPipelineVersionE2EDF16bDF16bLb0ELb0ELb0ELi0ELb0EEELb1ELNS_25InMemoryDataOperationEnumE1ELi2ELNS_10TailNumberE10EEEvNT_8ArgumentE.kd
    .uniform_work_group_size: 1
    .uses_dynamic_stack: false
    .vgpr_count:     0
    .vgpr_spill_count: 0
    .wavefront_size: 32
    .workgroup_processor_mode: 1
  - .args:
      - .offset:         0
        .size:           112
        .value_kind:     by_value
    .group_segment_fixed_size: 0
    .kernarg_segment_align: 8
    .kernarg_segment_size: 112
    .language:       OpenCL C
    .language_version:
      - 2
      - 0
    .max_flat_workgroup_size: 256
    .name:           _ZN2ck27kernel_gemm_xdl_cshuffle_v3INS_28GridwiseGemm_xdl_cshuffle_v3INS_13tensor_layout4gemm8RowMajorENS3_11ColumnMajorES4_DF16bDF16bfDF16bDF16bNS_16tensor_operation12element_wise11PassThroughES8_S8_LNS6_6device18GemmSpecializationE0ELi256ELi128ELi128ELi64ELi8ELi8ELi16ELi16ELi4ELi4ENS_8SequenceIJLi8ELi32ELi1EEEENSB_IJLi1ELi0ELi2EEEESD_Li2ELi8ELi8ELb0ELi0ESC_SD_SD_Li2ELi8ELi8ELb0ELi0ELi1ELi2ENSB_IJLi1ELi32ELi1ELi8EEEELi8ELNS_26BlockGemmPipelineSchedulerE0ELNS_24BlockGemmPipelineVersionE2EDF16bDF16bLb0ELb0ELb0ELi0ELb0EEELb1ELNS_25InMemoryDataOperationEnumE0ELi2ELNS_10TailNumberE10EEEvNT_8ArgumentE
    .private_segment_fixed_size: 0
    .sgpr_count:     0
    .sgpr_spill_count: 0
    .symbol:         _ZN2ck27kernel_gemm_xdl_cshuffle_v3INS_28GridwiseGemm_xdl_cshuffle_v3INS_13tensor_layout4gemm8RowMajorENS3_11ColumnMajorES4_DF16bDF16bfDF16bDF16bNS_16tensor_operation12element_wise11PassThroughES8_S8_LNS6_6device18GemmSpecializationE0ELi256ELi128ELi128ELi64ELi8ELi8ELi16ELi16ELi4ELi4ENS_8SequenceIJLi8ELi32ELi1EEEENSB_IJLi1ELi0ELi2EEEESD_Li2ELi8ELi8ELb0ELi0ESC_SD_SD_Li2ELi8ELi8ELb0ELi0ELi1ELi2ENSB_IJLi1ELi32ELi1ELi8EEEELi8ELNS_26BlockGemmPipelineSchedulerE0ELNS_24BlockGemmPipelineVersionE2EDF16bDF16bLb0ELb0ELb0ELi0ELb0EEELb1ELNS_25InMemoryDataOperationEnumE0ELi2ELNS_10TailNumberE10EEEvNT_8ArgumentE.kd
    .uniform_work_group_size: 1
    .uses_dynamic_stack: false
    .vgpr_count:     0
    .vgpr_spill_count: 0
    .wavefront_size: 32
    .workgroup_processor_mode: 1
  - .args:
      - .offset:         0
        .size:           112
        .value_kind:     by_value
    .group_segment_fixed_size: 32768
    .kernarg_segment_align: 8
    .kernarg_segment_size: 112
    .language:       OpenCL C
    .language_version:
      - 2
      - 0
    .max_flat_workgroup_size: 256
    .name:           _ZN2ck27kernel_gemm_xdl_cshuffle_v3INS_28GridwiseGemm_xdl_cshuffle_v3INS_13tensor_layout4gemm8RowMajorENS3_11ColumnMajorES4_DF16bDF16bfDF16bDF16bNS_16tensor_operation12element_wise11PassThroughES8_S8_LNS6_6device18GemmSpecializationE0ELi256ELi128ELi128ELi64ELi8ELi8ELi16ELi16ELi4ELi2ENS_8SequenceIJLi8ELi32ELi1EEEENSB_IJLi1ELi0ELi2EEEESD_Li2ELi8ELi8ELb0ELi0ESC_SD_SD_Li2ELi8ELi8ELb0ELi0ELi1ELi2ENSB_IJLi1ELi32ELi1ELi8EEEELi8ELNS_26BlockGemmPipelineSchedulerE0ELNS_24BlockGemmPipelineVersionE2EDF16bDF16bLb0ELb0ELb0ELi0ELb0EEELb1ELNS_25InMemoryDataOperationEnumE1ELi2ELNS_10TailNumberE10EEEvNT_8ArgumentE
    .private_segment_fixed_size: 0
    .sgpr_count:     31
    .sgpr_spill_count: 0
    .symbol:         _ZN2ck27kernel_gemm_xdl_cshuffle_v3INS_28GridwiseGemm_xdl_cshuffle_v3INS_13tensor_layout4gemm8RowMajorENS3_11ColumnMajorES4_DF16bDF16bfDF16bDF16bNS_16tensor_operation12element_wise11PassThroughES8_S8_LNS6_6device18GemmSpecializationE0ELi256ELi128ELi128ELi64ELi8ELi8ELi16ELi16ELi4ELi2ENS_8SequenceIJLi8ELi32ELi1EEEENSB_IJLi1ELi0ELi2EEEESD_Li2ELi8ELi8ELb0ELi0ESC_SD_SD_Li2ELi8ELi8ELb0ELi0ELi1ELi2ENSB_IJLi1ELi32ELi1ELi8EEEELi8ELNS_26BlockGemmPipelineSchedulerE0ELNS_24BlockGemmPipelineVersionE2EDF16bDF16bLb0ELb0ELb0ELi0ELb0EEELb1ELNS_25InMemoryDataOperationEnumE1ELi2ELNS_10TailNumberE10EEEvNT_8ArgumentE.kd
    .uniform_work_group_size: 1
    .uses_dynamic_stack: false
    .vgpr_count:     232
    .vgpr_spill_count: 0
    .wavefront_size: 32
    .workgroup_processor_mode: 1
  - .args:
      - .offset:         0
        .size:           112
        .value_kind:     by_value
    .group_segment_fixed_size: 32768
    .kernarg_segment_align: 8
    .kernarg_segment_size: 112
    .language:       OpenCL C
    .language_version:
      - 2
      - 0
    .max_flat_workgroup_size: 256
    .name:           _ZN2ck27kernel_gemm_xdl_cshuffle_v3INS_28GridwiseGemm_xdl_cshuffle_v3INS_13tensor_layout4gemm8RowMajorENS3_11ColumnMajorES4_DF16bDF16bfDF16bDF16bNS_16tensor_operation12element_wise11PassThroughES8_S8_LNS6_6device18GemmSpecializationE0ELi256ELi128ELi128ELi64ELi8ELi8ELi16ELi16ELi4ELi2ENS_8SequenceIJLi8ELi32ELi1EEEENSB_IJLi1ELi0ELi2EEEESD_Li2ELi8ELi8ELb0ELi0ESC_SD_SD_Li2ELi8ELi8ELb0ELi0ELi1ELi2ENSB_IJLi1ELi32ELi1ELi8EEEELi8ELNS_26BlockGemmPipelineSchedulerE0ELNS_24BlockGemmPipelineVersionE2EDF16bDF16bLb0ELb0ELb0ELi0ELb0EEELb1ELNS_25InMemoryDataOperationEnumE0ELi2ELNS_10TailNumberE10EEEvNT_8ArgumentE
    .private_segment_fixed_size: 0
    .sgpr_count:     32
    .sgpr_spill_count: 0
    .symbol:         _ZN2ck27kernel_gemm_xdl_cshuffle_v3INS_28GridwiseGemm_xdl_cshuffle_v3INS_13tensor_layout4gemm8RowMajorENS3_11ColumnMajorES4_DF16bDF16bfDF16bDF16bNS_16tensor_operation12element_wise11PassThroughES8_S8_LNS6_6device18GemmSpecializationE0ELi256ELi128ELi128ELi64ELi8ELi8ELi16ELi16ELi4ELi2ENS_8SequenceIJLi8ELi32ELi1EEEENSB_IJLi1ELi0ELi2EEEESD_Li2ELi8ELi8ELb0ELi0ESC_SD_SD_Li2ELi8ELi8ELb0ELi0ELi1ELi2ENSB_IJLi1ELi32ELi1ELi8EEEELi8ELNS_26BlockGemmPipelineSchedulerE0ELNS_24BlockGemmPipelineVersionE2EDF16bDF16bLb0ELb0ELb0ELi0ELb0EEELb1ELNS_25InMemoryDataOperationEnumE0ELi2ELNS_10TailNumberE10EEEvNT_8ArgumentE.kd
    .uniform_work_group_size: 1
    .uses_dynamic_stack: false
    .vgpr_count:     232
    .vgpr_spill_count: 0
    .wavefront_size: 32
    .workgroup_processor_mode: 1
amdhsa.target:   amdgcn-amd-amdhsa--gfx1201
amdhsa.version:
  - 1
  - 2
...

	.end_amdgpu_metadata
